;; amdgpu-corpus repo=ROCm/rocFFT kind=compiled arch=gfx1100 opt=O3
	.text
	.amdgcn_target "amdgcn-amd-amdhsa--gfx1100"
	.amdhsa_code_object_version 6
	.protected	bluestein_single_fwd_len1386_dim1_dp_op_CI_CI ; -- Begin function bluestein_single_fwd_len1386_dim1_dp_op_CI_CI
	.globl	bluestein_single_fwd_len1386_dim1_dp_op_CI_CI
	.p2align	8
	.type	bluestein_single_fwd_len1386_dim1_dp_op_CI_CI,@function
bluestein_single_fwd_len1386_dim1_dp_op_CI_CI: ; @bluestein_single_fwd_len1386_dim1_dp_op_CI_CI
; %bb.0:
	s_load_b128 s[16:19], s[0:1], 0x28
	v_mul_u32_u24_e32 v1, 0x11c, v0
	s_mov_b32 s2, exec_lo
	v_mov_b32_e32 v7, 0
	s_delay_alu instid0(VALU_DEP_2) | instskip(NEXT) | instid1(VALU_DEP_1)
	v_lshrrev_b32_e32 v1, 16, v1
	v_add_nc_u32_e32 v6, s15, v1
	s_waitcnt lgkmcnt(0)
	s_delay_alu instid0(VALU_DEP_1)
	v_cmpx_gt_u64_e64 s[16:17], v[6:7]
	s_cbranch_execz .LBB0_18
; %bb.1:
	s_clause 0x1
	s_load_b128 s[4:7], s[0:1], 0x18
	s_load_b128 s[8:11], s[0:1], 0x0
	v_mul_lo_u16 v1, 0xe7, v1
	v_mov_b32_e32 v4, v6
	s_delay_alu instid0(VALU_DEP_2)
	v_sub_nc_u16 v72, v0, v1
	scratch_store_b64 off, v[4:5], off      ; 8-byte Folded Spill
	v_and_b32_e32 v120, 0xffff, v72
	s_waitcnt lgkmcnt(0)
	s_load_b128 s[12:15], s[4:5], 0x0
	s_waitcnt lgkmcnt(0)
	v_mad_u64_u32 v[0:1], null, s14, v6, 0
	v_mad_u64_u32 v[2:3], null, s12, v120, 0
	s_mul_i32 s2, s13, 0x2b50
	s_mul_hi_u32 s3, s12, 0x2b50
	s_mul_i32 s4, s12, 0x2b50
	s_add_i32 s3, s3, s2
	s_delay_alu instid0(VALU_DEP_1) | instskip(NEXT) | instid1(VALU_DEP_1)
	v_mad_u64_u32 v[4:5], null, s15, v6, v[1:2]
	v_mov_b32_e32 v1, v4
	s_delay_alu instid0(VALU_DEP_3)
	v_mad_u64_u32 v[5:6], null, s13, v120, v[3:4]
	v_lshlrev_b32_e32 v164, 4, v120
	s_clause 0x1
	global_load_b128 v[48:51], v164, s[8:9]
	global_load_b128 v[52:55], v164, s[8:9] offset:3696
	v_mov_b32_e32 v3, v5
	v_lshlrev_b64 v[0:1], 4, v[0:1]
	v_add_co_u32 v6, s2, s8, v164
	s_delay_alu instid0(VALU_DEP_1) | instskip(NEXT) | instid1(VALU_DEP_4)
	v_add_co_ci_u32_e64 v7, null, s9, 0, s2
	v_lshlrev_b64 v[2:3], 4, v[2:3]
	s_delay_alu instid0(VALU_DEP_4) | instskip(SKIP_2) | instid1(VALU_DEP_2)
	v_add_co_u32 v0, vcc_lo, s18, v0
	v_add_co_ci_u32_e32 v1, vcc_lo, s19, v1, vcc_lo
	s_mul_i32 s2, s13, 0xffffe320
	v_add_co_u32 v0, vcc_lo, v0, v2
	s_delay_alu instid0(VALU_DEP_2) | instskip(SKIP_1) | instid1(VALU_DEP_2)
	v_add_co_ci_u32_e32 v1, vcc_lo, v1, v3, vcc_lo
	s_sub_i32 s2, s2, s12
	v_add_co_u32 v4, vcc_lo, v0, s4
	s_delay_alu instid0(VALU_DEP_2) | instskip(SKIP_2) | instid1(VALU_DEP_3)
	v_add_co_ci_u32_e32 v5, vcc_lo, s3, v1, vcc_lo
	v_add_co_u32 v2, vcc_lo, 0x2000, v6
	v_add_co_ci_u32_e32 v3, vcc_lo, 0, v7, vcc_lo
	v_mad_u64_u32 v[8:9], null, 0xffffe320, s12, v[4:5]
	v_add_co_u32 v16, vcc_lo, 0x3000, v6
	v_add_co_ci_u32_e32 v17, vcc_lo, 0, v7, vcc_lo
	v_lshlrev_b32_e32 v83, 5, v120
	s_delay_alu instid0(VALU_DEP_4) | instskip(SKIP_1) | instid1(VALU_DEP_2)
	v_add_nc_u32_e32 v9, s2, v9
	v_add_co_u32 v12, vcc_lo, v8, s4
	v_add_co_ci_u32_e32 v13, vcc_lo, s3, v9, vcc_lo
	v_add_co_u32 v18, vcc_lo, 0x1000, v6
	v_add_co_ci_u32_e32 v19, vcc_lo, 0, v7, vcc_lo
	s_delay_alu instid0(VALU_DEP_3)
	v_mad_u64_u32 v[20:21], null, 0xffffe320, s12, v[12:13]
	v_add_co_u32 v22, vcc_lo, 0x4000, v6
	v_add_co_ci_u32_e32 v23, vcc_lo, 0, v7, vcc_lo
	global_load_b128 v[56:59], v[2:3], off offset:2896
	s_clause 0x3
	global_load_b128 v[0:3], v[0:1], off
	global_load_b128 v[4:7], v[4:5], off
	;; [unrolled: 1-line block ×4, first 2 shown]
	v_add_nc_u32_e32 v21, s2, v21
	v_add_co_u32 v24, vcc_lo, v20, s4
	s_delay_alu instid0(VALU_DEP_2)
	v_add_co_ci_u32_e32 v25, vcc_lo, s3, v21, vcc_lo
	s_clause 0x1
	global_load_b128 v[64:67], v[16:17], off offset:2496
	global_load_b128 v[60:63], v[18:19], off offset:3296
	global_load_b128 v[16:19], v[20:21], off
	global_load_b128 v[68:71], v[22:23], off offset:2096
	global_load_b128 v[20:23], v[24:25], off
	s_load_b128 s[4:7], s[6:7], 0x0
	s_load_b64 s[2:3], s[0:1], 0x38
	v_add_co_u32 v76, s0, 0xe7, v120
	v_cmp_gt_u16_e32 vcc_lo, 0xc6, v72
                                        ; implicit-def: $vgpr72_vgpr73
	s_waitcnt vmcnt(11)
	scratch_store_b128 off, v[48:51], off offset:12 ; 16-byte Folded Spill
	s_waitcnt vmcnt(10)
	scratch_store_b128 off, v[52:55], off offset:28 ; 16-byte Folded Spill
	;; [unrolled: 2-line block ×3, first 2 shown]
	s_waitcnt vmcnt(8)
	v_mul_f64 v[24:25], v[2:3], v[50:51]
	v_mul_f64 v[26:27], v[0:1], v[50:51]
	s_waitcnt vmcnt(6)
	v_mul_f64 v[32:33], v[10:11], v[54:55]
	v_mul_f64 v[34:35], v[8:9], v[54:55]
	v_mul_f64 v[28:29], v[6:7], v[58:59]
	v_mul_f64 v[30:31], v[4:5], v[58:59]
	s_waitcnt vmcnt(4)
	v_mul_f64 v[36:37], v[14:15], v[66:67]
	s_waitcnt vmcnt(3)
	scratch_store_b128 off, v[60:63], off offset:60 ; 16-byte Folded Spill
	s_waitcnt vmcnt(2)
	v_mul_f64 v[40:41], v[18:19], v[62:63]
	v_mul_f64 v[42:43], v[16:17], v[62:63]
	;; [unrolled: 1-line block ×3, first 2 shown]
	s_waitcnt vmcnt(0)
	v_mul_f64 v[44:45], v[22:23], v[70:71]
	v_mul_f64 v[46:47], v[20:21], v[70:71]
	s_clause 0x1
	scratch_store_b128 off, v[64:67], off offset:76
	scratch_store_b128 off, v[68:71], off offset:92
	v_fma_f64 v[0:1], v[0:1], v[48:49], v[24:25]
	v_fma_f64 v[2:3], v[2:3], v[48:49], -v[26:27]
	v_fma_f64 v[8:9], v[8:9], v[52:53], v[32:33]
	v_fma_f64 v[10:11], v[10:11], v[52:53], -v[34:35]
	;; [unrolled: 2-line block ×3, first 2 shown]
	v_fma_f64 v[12:13], v[12:13], v[64:65], v[36:37]
	v_fma_f64 v[16:17], v[16:17], v[60:61], v[40:41]
	v_fma_f64 v[18:19], v[18:19], v[60:61], -v[42:43]
	v_fma_f64 v[14:15], v[14:15], v[64:65], -v[38:39]
	v_fma_f64 v[20:21], v[20:21], v[68:69], v[44:45]
	v_fma_f64 v[22:23], v[22:23], v[68:69], -v[46:47]
	ds_store_b128 v164, v[0:3]
	ds_store_b128 v164, v[8:11] offset:3696
	ds_store_b128 v164, v[4:7] offset:11088
	;; [unrolled: 1-line block ×5, first 2 shown]
	s_waitcnt lgkmcnt(0)
	s_waitcnt_vscnt null, 0x0
	s_barrier
	buffer_gl0_inv
	ds_load_b128 v[0:3], v164 offset:11088
	ds_load_b128 v[4:7], v164
	ds_load_b128 v[8:11], v164 offset:3696
	ds_load_b128 v[12:15], v164 offset:14784
	;; [unrolled: 1-line block ×4, first 2 shown]
	s_waitcnt lgkmcnt(0)
	s_barrier
	buffer_gl0_inv
	v_add_f64 v[52:53], v[4:5], -v[0:1]
	v_add_f64 v[54:55], v[6:7], -v[2:3]
	;; [unrolled: 1-line block ×6, first 2 shown]
	v_add_co_ci_u32_e64 v0, null, 0, 0, s0
	v_lshlrev_b32_e32 v0, 5, v76
	v_fma_f64 v[48:49], v[4:5], 2.0, -v[52:53]
	v_fma_f64 v[50:51], v[6:7], 2.0, -v[54:55]
	;; [unrolled: 1-line block ×6, first 2 shown]
	ds_store_b128 v83, v[48:51]
	ds_store_b128 v83, v[52:55] offset:16
	ds_store_b128 v0, v[60:63]
	scratch_store_b32 off, v0, off offset:112 ; 4-byte Folded Spill
	ds_store_b128 v0, v[56:59] offset:16
	ds_store_b128 v83, v[64:67] offset:14784
	;; [unrolled: 1-line block ×3, first 2 shown]
	s_waitcnt lgkmcnt(0)
	s_waitcnt_vscnt null, 0x0
	s_barrier
	buffer_gl0_inv
	s_and_saveexec_b32 s0, vcc_lo
	s_cbranch_execz .LBB0_3
; %bb.2:
	ds_load_b128 v[48:51], v164
	ds_load_b128 v[52:55], v164 offset:3168
	ds_load_b128 v[60:63], v164 offset:6336
	;; [unrolled: 1-line block ×6, first 2 shown]
.LBB0_3:
	s_or_b32 exec_lo, exec_lo, s0
	v_and_b32_e32 v0, 1, v120
	s_mov_b32 s0, 0x37e14327
	s_mov_b32 s12, 0xb247c609
	;; [unrolled: 1-line block ×4, first 2 shown]
	scratch_store_b32 off, v0, off offset:140 ; 4-byte Folded Spill
	v_mul_u32_u24_e32 v0, 6, v0
	s_mov_b32 s14, 0xaaaaaaaa
	s_mov_b32 s15, 0xbff2aaaa
	s_delay_alu instid0(VALU_DEP_1)
	v_lshlrev_b32_e32 v0, 4, v0
	s_clause 0x5
	global_load_b128 v[28:31], v0, s[10:11]
	global_load_b128 v[24:27], v0, s[10:11] offset:16
	global_load_b128 v[32:35], v0, s[10:11] offset:80
	;; [unrolled: 1-line block ×5, first 2 shown]
	s_waitcnt vmcnt(5) lgkmcnt(5)
	v_mul_f64 v[0:1], v[54:55], v[30:31]
	v_mul_f64 v[2:3], v[52:53], v[30:31]
	s_waitcnt vmcnt(4) lgkmcnt(4)
	v_mul_f64 v[4:5], v[62:63], v[26:27]
	v_mul_f64 v[6:7], v[60:61], v[26:27]
	;; [unrolled: 3-line block ×3, first 2 shown]
	s_waitcnt vmcnt(2)
	v_mul_f64 v[12:13], v[70:71], v[46:47]
	v_mul_f64 v[14:15], v[68:69], v[46:47]
	s_waitcnt vmcnt(1)
	v_mul_f64 v[16:17], v[58:59], v[42:43]
	v_mul_f64 v[18:19], v[56:57], v[42:43]
	;; [unrolled: 3-line block ×3, first 2 shown]
	v_fma_f64 v[52:53], v[52:53], v[28:29], -v[0:1]
	v_fma_f64 v[2:3], v[54:55], v[28:29], v[2:3]
	v_fma_f64 v[54:55], v[60:61], v[24:25], -v[4:5]
	v_fma_f64 v[60:61], v[62:63], v[24:25], v[6:7]
	;; [unrolled: 2-line block ×6, first 2 shown]
	v_add_f64 v[0:1], v[52:53], v[8:9]
	v_add_f64 v[6:7], v[2:3], v[62:63]
	;; [unrolled: 1-line block ×4, first 2 shown]
	v_add_f64 v[12:13], v[52:53], -v[8:9]
	v_add_f64 v[2:3], v[2:3], -v[62:63]
	v_add_f64 v[52:53], v[16:17], v[20:21]
	v_add_f64 v[58:59], v[18:19], v[22:23]
	v_add_f64 v[16:17], v[20:21], -v[16:17]
	v_add_f64 v[18:19], v[22:23], -v[18:19]
	v_add_f64 v[20:21], v[54:55], -v[68:69]
	v_add_f64 v[8:9], v[60:61], -v[14:15]
	v_add_f64 v[22:23], v[4:5], v[0:1]
	v_add_f64 v[56:57], v[10:11], v[6:7]
	v_add_f64 v[14:15], v[0:1], -v[52:53]
	v_add_f64 v[54:55], v[6:7], -v[58:59]
	;; [unrolled: 6-line block ×3, first 2 shown]
	v_add_f64 v[22:23], v[52:53], v[22:23]
	v_add_f64 v[77:78], v[58:59], v[56:57]
	v_add_f64 v[56:57], v[52:53], -v[4:5]
	v_add_f64 v[58:59], v[58:59], -v[10:11]
	v_mul_f64 v[52:53], v[14:15], s[0:1]
	v_mul_f64 v[54:55], v[54:55], s[0:1]
	;; [unrolled: 1-line block ×4, first 2 shown]
	s_mov_b32 s0, 0x36b3c0b5
	s_mov_b32 s12, 0xe976ee23
	;; [unrolled: 1-line block ×4, first 2 shown]
	v_add_f64 v[72:73], v[72:73], v[12:13]
	v_add_f64 v[74:75], v[74:75], v[2:3]
	;; [unrolled: 1-line block ×4, first 2 shown]
	v_fma_f64 v[16:17], v[56:57], s[0:1], v[52:53]
	v_fma_f64 v[79:80], v[58:59], s[0:1], v[54:55]
	;; [unrolled: 1-line block ×6, first 2 shown]
	s_mov_b32 s14, 0x37c3f68c
	s_mov_b32 s15, 0x3fdc38aa
	v_lshrrev_b32_e32 v77, 1, v120
	v_fma_f64 v[18:19], v[72:73], s[14:15], v[14:15]
	v_fma_f64 v[14:15], v[74:75], s[14:15], v[81:82]
	scratch_store_b32 off, v77, off offset:144 ; 4-byte Folded Spill
	s_waitcnt_vscnt null, 0x0
	s_barrier
	buffer_gl0_inv
	v_add_f64 v[16:17], v[16:17], v[60:61]
	v_add_f64 v[22:23], v[79:80], v[66:67]
	s_delay_alu instid0(VALU_DEP_2) | instskip(NEXT) | instid1(VALU_DEP_2)
	v_add_f64 v[108:109], v[16:17], -v[14:15]
	v_add_f64 v[110:111], v[18:19], v[22:23]
	s_and_saveexec_b32 s16, vcc_lo
	s_cbranch_execz .LBB0_5
; %bb.4:
	v_add_f64 v[12:13], v[20:21], -v[12:13]
	v_add_f64 v[6:7], v[10:11], -v[6:7]
	;; [unrolled: 1-line block ×4, first 2 shown]
	v_mul_f64 v[4:5], v[58:59], s[0:1]
	v_mul_f64 v[8:9], v[64:65], s[12:13]
	;; [unrolled: 1-line block ×4, first 2 shown]
	s_mov_b32 s1, 0xbfebfeb5
	s_mov_b32 s0, 0x429ad128
	;; [unrolled: 1-line block ×4, first 2 shown]
	v_mul_f64 v[56:57], v[72:73], s[14:15]
	v_mul_f64 v[58:59], v[74:75], s[14:15]
	v_fma_f64 v[62:63], v[12:13], s[0:1], -v[70:71]
	v_fma_f64 v[54:55], v[6:7], s[12:13], -v[54:55]
	;; [unrolled: 1-line block ×4, first 2 shown]
	s_mov_b32 s13, 0x3fe77f67
	s_mov_b32 s1, 0x3febfeb5
	v_fma_f64 v[4:5], v[6:7], s[12:13], -v[4:5]
	v_fma_f64 v[6:7], v[12:13], s[0:1], -v[8:9]
	;; [unrolled: 1-line block ×4, first 2 shown]
	v_add_f64 v[8:9], v[56:57], v[62:63]
	v_add_f64 v[10:11], v[54:55], v[66:67]
	;; [unrolled: 1-line block ×8, first 2 shown]
	v_add_f64 v[2:3], v[22:23], -v[18:19]
	v_add_f64 v[0:1], v[14:15], v[16:17]
	v_add_f64 v[6:7], v[8:9], v[10:11]
	v_add_f64 v[10:11], v[10:11], -v[8:9]
	v_add_f64 v[8:9], v[52:53], v[20:21]
	v_add_f64 v[18:19], v[12:13], v[4:5]
	v_add_f64 v[14:15], v[4:5], -v[12:13]
	v_add_f64 v[16:17], v[54:55], -v[56:57]
	v_add_f64 v[12:13], v[56:57], v[54:55]
	v_add_f64 v[4:5], v[20:21], -v[52:53]
	v_lshrrev_b32_e32 v20, 1, v120
	v_and_b32_e32 v21, 1, v120
	s_delay_alu instid0(VALU_DEP_2) | instskip(NEXT) | instid1(VALU_DEP_1)
	v_mul_u32_u24_e32 v20, 14, v20
	v_or_b32_e32 v20, v20, v21
	s_delay_alu instid0(VALU_DEP_1)
	v_lshlrev_b32_e32 v20, 4, v20
	ds_store_b128 v20, v[48:51]
	ds_store_b128 v20, v[0:3] offset:32
	ds_store_b128 v20, v[8:11] offset:64
	;; [unrolled: 1-line block ×6, first 2 shown]
.LBB0_5:
	s_or_b32 exec_lo, exec_lo, s16
	v_lshrrev_b16 v0, 1, v76
	v_lshrrev_b16 v1, 1, v120
	scratch_store_b32 off, v83, off offset:116 ; 4-byte Folded Spill
	s_waitcnt lgkmcnt(0)
	s_waitcnt_vscnt null, 0x0
	s_barrier
	v_and_b32_e32 v2, 0xffff, v0
	v_and_b32_e32 v0, 0x7f, v1
	buffer_gl0_inv
	s_mov_b32 s13, 0xbfebb67a
                                        ; implicit-def: $vgpr100_vgpr101
                                        ; implicit-def: $vgpr116_vgpr117
                                        ; implicit-def: $vgpr92_vgpr93
	v_mul_u32_u24_e32 v1, 0x4925, v2
	v_mul_lo_u16 v2, 0x93, v0
	s_delay_alu instid0(VALU_DEP_2) | instskip(NEXT) | instid1(VALU_DEP_2)
	v_lshrrev_b32_e32 v23, 17, v1
	v_lshrrev_b16 v88, 10, v2
	s_delay_alu instid0(VALU_DEP_2) | instskip(NEXT) | instid1(VALU_DEP_2)
	v_mul_lo_u16 v1, v23, 14
	v_mul_lo_u16 v2, v88, 14
	s_delay_alu instid0(VALU_DEP_2) | instskip(NEXT) | instid1(VALU_DEP_2)
	v_sub_nc_u16 v89, v76, v1
	v_sub_nc_u16 v1, v120, v2
	s_delay_alu instid0(VALU_DEP_2) | instskip(NEXT) | instid1(VALU_DEP_2)
	v_lshlrev_b16 v2, 5, v89
	v_and_b32_e32 v90, 0xff, v1
	s_delay_alu instid0(VALU_DEP_2) | instskip(NEXT) | instid1(VALU_DEP_2)
	v_and_b32_e32 v1, 0xffff, v2
	v_lshlrev_b32_e32 v3, 5, v90
	s_delay_alu instid0(VALU_DEP_2) | instskip(NEXT) | instid1(VALU_DEP_1)
	v_add_co_u32 v1, s0, s10, v1
	v_add_co_ci_u32_e64 v2, null, s11, 0, s0
	s_mov_b32 s0, 0xe8584caa
	s_clause 0x3
	global_load_b128 v[56:59], v3, s[10:11] offset:192
	global_load_b128 v[52:55], v3, s[10:11] offset:208
	global_load_b128 v[64:67], v[1:2], off offset:192
	global_load_b128 v[60:63], v[1:2], off offset:208
	ds_load_b128 v[1:4], v164 offset:7392
	ds_load_b128 v[5:8], v164 offset:14784
	;; [unrolled: 1-line block ×4, first 2 shown]
	s_mov_b32 s1, 0x3febb67a
	s_mov_b32 s12, s0
	s_waitcnt vmcnt(3) lgkmcnt(3)
	v_mul_f64 v[17:18], v[3:4], v[58:59]
	s_waitcnt vmcnt(2) lgkmcnt(2)
	v_mul_f64 v[19:20], v[7:8], v[54:55]
	v_mul_f64 v[21:22], v[1:2], v[58:59]
	v_mul_f64 v[48:49], v[5:6], v[54:55]
	s_waitcnt vmcnt(1) lgkmcnt(1)
	v_mul_f64 v[50:51], v[11:12], v[66:67]
	s_waitcnt vmcnt(0) lgkmcnt(0)
	v_mul_f64 v[68:69], v[15:16], v[62:63]
	v_mul_f64 v[70:71], v[9:10], v[66:67]
	;; [unrolled: 1-line block ×3, first 2 shown]
	v_fma_f64 v[17:18], v[1:2], v[56:57], -v[17:18]
	v_fma_f64 v[19:20], v[5:6], v[52:53], -v[19:20]
	v_fma_f64 v[21:22], v[3:4], v[56:57], v[21:22]
	v_fma_f64 v[48:49], v[7:8], v[52:53], v[48:49]
	v_fma_f64 v[9:10], v[9:10], v[64:65], -v[50:51]
	v_fma_f64 v[13:14], v[13:14], v[60:61], -v[68:69]
	v_fma_f64 v[11:12], v[11:12], v[64:65], v[70:71]
	v_fma_f64 v[15:16], v[15:16], v[60:61], v[72:73]
	ds_load_b128 v[1:4], v164
	ds_load_b128 v[5:8], v164 offset:3696
	s_waitcnt lgkmcnt(1)
	v_add_f64 v[74:75], v[1:2], v[17:18]
	v_add_f64 v[50:51], v[17:18], v[19:20]
	v_add_f64 v[17:18], v[17:18], -v[19:20]
	v_add_f64 v[68:69], v[21:22], v[48:49]
	v_add_f64 v[76:77], v[21:22], -v[48:49]
	v_add_f64 v[70:71], v[9:10], v[13:14]
	v_add_f64 v[21:22], v[3:4], v[21:22]
	;; [unrolled: 1-line block ×3, first 2 shown]
	s_waitcnt lgkmcnt(0)
	v_add_f64 v[78:79], v[5:6], v[9:10]
	v_add_f64 v[80:81], v[7:8], v[11:12]
	v_add_f64 v[11:12], v[11:12], -v[15:16]
	v_add_f64 v[9:10], v[9:10], -v[13:14]
	v_add_f64 v[104:105], v[74:75], v[19:20]
	v_fma_f64 v[1:2], v[50:51], -0.5, v[1:2]
	v_fma_f64 v[3:4], v[68:69], -0.5, v[3:4]
	v_fma_f64 v[5:6], v[70:71], -0.5, v[5:6]
	v_add_f64 v[106:107], v[21:22], v[48:49]
	v_fma_f64 v[7:8], v[72:73], -0.5, v[7:8]
	v_add_f64 v[84:85], v[78:79], v[13:14]
	v_add_f64 v[86:87], v[80:81], v[15:16]
	v_fma_f64 v[72:73], v[76:77], s[0:1], v[1:2]
	v_fma_f64 v[80:81], v[76:77], s[12:13], v[1:2]
	;; [unrolled: 1-line block ×8, first 2 shown]
	v_and_b32_e32 v1, 0xffff, v88
	v_mad_u16 v2, v23, 42, v89
	v_cmp_gt_u16_e64 s0, 0x7e, v120
                                        ; implicit-def: $vgpr88_vgpr89
	s_delay_alu instid0(VALU_DEP_3) | instskip(NEXT) | instid1(VALU_DEP_3)
	v_mul_u32_u24_e32 v3, 42, v1
	v_and_b32_e32 v4, 0xffff, v2
	v_lshlrev_b32_e32 v1, 1, v120
	s_delay_alu instid0(VALU_DEP_3)
	v_add_lshl_u32 v2, v3, v90, 4
	scratch_store_b32 off, v1, off offset:132 ; 4-byte Folded Spill
	v_lshlrev_b32_e32 v1, 4, v4
	s_waitcnt_vscnt null, 0x0
	s_barrier
	buffer_gl0_inv
	ds_store_b128 v2, v[104:107]
	ds_store_b128 v2, v[72:75] offset:224
	scratch_store_b32 off, v2, off offset:128 ; 4-byte Folded Spill
	ds_store_b128 v2, v[80:83] offset:448
	ds_store_b128 v1, v[84:87]
	ds_store_b128 v1, v[96:99] offset:224
	scratch_store_b32 off, v1, off offset:124 ; 4-byte Folded Spill
	ds_store_b128 v1, v[112:115] offset:448
	s_waitcnt lgkmcnt(0)
	s_waitcnt_vscnt null, 0x0
	s_barrier
	buffer_gl0_inv
	s_and_saveexec_b32 s1, s0
	s_cbranch_execz .LBB0_7
; %bb.6:
	ds_load_b128 v[104:107], v164
	ds_load_b128 v[72:75], v164 offset:2016
	ds_load_b128 v[80:83], v164 offset:4032
	;; [unrolled: 1-line block ×10, first 2 shown]
.LBB0_7:
	s_or_b32 exec_lo, exec_lo, s1
	v_mul_lo_u16 v0, v0, 49
	s_mov_b32 s26, 0xf8bb580b
	s_mov_b32 s27, 0xbfe14ced
	;; [unrolled: 1-line block ×4, first 2 shown]
	v_lshrrev_b16 v255, 10, v0
	s_mov_b32 s14, 0x8764f0ba
	s_mov_b32 s15, 0x3feaeb8c
	;; [unrolled: 1-line block ×4, first 2 shown]
	v_mul_lo_u16 v0, v255, 42
	s_mov_b32 s24, 0x43842ef
	s_mov_b32 s25, 0xbfefac9e
	;; [unrolled: 1-line block ×4, first 2 shown]
	v_sub_nc_u16 v0, v120, v0
	s_mov_b32 s28, 0xbb3a28a1
	s_mov_b32 s29, 0xbfe82f19
	;; [unrolled: 1-line block ×4, first 2 shown]
	v_and_b32_e32 v2, 0xff, v0
	scratch_store_b32 off, v120, off offset:8 ; 4-byte Folded Spill
	s_mov_b32 s30, 0xfd768dbf
	s_mov_b32 s31, 0xbfd207e7
	;; [unrolled: 1-line block ×3, first 2 shown]
	scratch_store_b32 off, v2, off offset:108 ; 4-byte Folded Spill
	v_mad_u64_u32 v[0:1], null, 0xa0, v2, s[10:11]
	s_mov_b32 s21, 0xbfeeb42a
	s_mov_b32 s35, 0x3fd207e7
	;; [unrolled: 1-line block ×5, first 2 shown]
	s_clause 0x1
	global_load_b128 v[48:51], v[0:1], off offset:640
	global_load_b128 v[68:71], v[0:1], off offset:656
	s_mov_b32 s39, 0x3fe14ced
	s_mov_b32 s38, s26
	s_waitcnt vmcnt(1) lgkmcnt(9)
	v_mul_f64 v[2:3], v[72:73], v[50:51]
	s_delay_alu instid0(VALU_DEP_1) | instskip(SKIP_1) | instid1(VALU_DEP_1)
	v_fma_f64 v[165:166], v[74:75], v[48:49], v[2:3]
	v_mul_f64 v[2:3], v[74:75], v[50:51]
	v_fma_f64 v[167:168], v[72:73], v[48:49], -v[2:3]
	s_clause 0x1
	global_load_b128 v[72:75], v[0:1], off offset:784
	global_load_b128 v[76:79], v[0:1], off offset:768
	s_waitcnt vmcnt(1) lgkmcnt(0)
	v_mul_f64 v[2:3], v[92:93], v[74:75]
	s_delay_alu instid0(VALU_DEP_1) | instskip(SKIP_1) | instid1(VALU_DEP_2)
	v_fma_f64 v[8:9], v[94:95], v[72:73], v[2:3]
	v_mul_f64 v[2:3], v[94:95], v[74:75]
	v_add_f64 v[4:5], v[165:166], -v[8:9]
	s_delay_alu instid0(VALU_DEP_2) | instskip(SKIP_2) | instid1(VALU_DEP_4)
	v_fma_f64 v[10:11], v[92:93], v[72:73], -v[2:3]
	v_mul_f64 v[2:3], v[80:81], v[70:71]
	v_add_f64 v[239:240], v[165:166], v[8:9]
	v_mul_f64 v[233:234], v[4:5], s[26:27]
	s_delay_alu instid0(VALU_DEP_4) | instskip(NEXT) | instid1(VALU_DEP_4)
	v_add_f64 v[235:236], v[167:168], v[10:11]
	v_fma_f64 v[16:17], v[82:83], v[68:69], v[2:3]
	v_mul_f64 v[2:3], v[82:83], v[70:71]
	v_mul_f64 v[142:143], v[4:5], s[28:29]
	;; [unrolled: 1-line block ×3, first 2 shown]
	s_delay_alu instid0(VALU_DEP_3) | instskip(SKIP_2) | instid1(VALU_DEP_1)
	v_fma_f64 v[18:19], v[80:81], v[68:69], -v[2:3]
	s_waitcnt vmcnt(0)
	v_mul_f64 v[2:3], v[88:89], v[78:79]
	v_fma_f64 v[14:15], v[90:91], v[76:77], v[2:3]
	v_mul_f64 v[2:3], v[90:91], v[78:79]
	s_delay_alu instid0(VALU_DEP_2) | instskip(NEXT) | instid1(VALU_DEP_2)
	v_add_f64 v[6:7], v[16:17], -v[14:15]
	v_fma_f64 v[12:13], v[88:89], v[76:77], -v[2:3]
	s_clause 0x1
	global_load_b128 v[80:83], v[0:1], off offset:672
	global_load_b128 v[88:91], v[0:1], off offset:688
	v_add_f64 v[175:176], v[16:17], v[14:15]
	v_mul_f64 v[201:202], v[6:7], s[28:29]
	v_add_f64 v[171:172], v[18:19], v[12:13]
	v_mul_f64 v[211:212], v[6:7], s[34:35]
	v_mul_f64 v[241:242], v[6:7], s[36:37]
	s_waitcnt vmcnt(1)
	v_mul_f64 v[2:3], v[84:85], v[82:83]
	s_delay_alu instid0(VALU_DEP_1) | instskip(SKIP_1) | instid1(VALU_DEP_1)
	v_fma_f64 v[152:153], v[86:87], v[80:81], v[2:3]
	v_mul_f64 v[2:3], v[86:87], v[82:83]
	v_fma_f64 v[154:155], v[84:85], v[80:81], -v[2:3]
	s_clause 0x1
	global_load_b128 v[84:87], v[0:1], off offset:752
	global_load_b128 v[92:95], v[0:1], off offset:736
	s_waitcnt vmcnt(1)
	v_mul_f64 v[2:3], v[116:117], v[86:87]
	s_delay_alu instid0(VALU_DEP_1) | instskip(SKIP_1) | instid1(VALU_DEP_2)
	v_fma_f64 v[156:157], v[118:119], v[84:85], v[2:3]
	v_mul_f64 v[2:3], v[118:119], v[86:87]
	v_add_f64 v[183:184], v[152:153], v[156:157]
	s_delay_alu instid0(VALU_DEP_2) | instskip(SKIP_1) | instid1(VALU_DEP_2)
	v_fma_f64 v[116:117], v[116:117], v[84:85], -v[2:3]
	v_mul_f64 v[2:3], v[96:97], v[90:91]
	v_add_f64 v[179:180], v[154:155], v[116:117]
	s_delay_alu instid0(VALU_DEP_2) | instskip(SKIP_2) | instid1(VALU_DEP_2)
	v_fma_f64 v[160:161], v[98:99], v[88:89], v[2:3]
	v_mul_f64 v[2:3], v[98:99], v[90:91]
	v_add_f64 v[22:23], v[154:155], -v[116:117]
	v_fma_f64 v[162:163], v[96:97], v[88:89], -v[2:3]
	s_waitcnt vmcnt(0)
	v_mul_f64 v[2:3], v[100:101], v[94:95]
	s_delay_alu instid0(VALU_DEP_3) | instskip(SKIP_2) | instid1(VALU_DEP_4)
	v_mul_f64 v[181:182], v[22:23], s[24:25]
	v_mul_f64 v[213:214], v[22:23], s[34:35]
	;; [unrolled: 1-line block ×3, first 2 shown]
	v_fma_f64 v[118:119], v[102:103], v[92:93], v[2:3]
	v_mul_f64 v[2:3], v[102:103], v[94:95]
	s_delay_alu instid0(VALU_DEP_2) | instskip(NEXT) | instid1(VALU_DEP_2)
	v_add_f64 v[136:137], v[160:161], -v[118:119]
	v_fma_f64 v[158:159], v[100:101], v[92:93], -v[2:3]
	s_clause 0x1
	global_load_b128 v[96:99], v[0:1], off offset:704
	global_load_b128 v[100:103], v[0:1], off offset:720
	v_mul_f64 v[2:3], v[6:7], s[22:23]
	v_add_f64 v[191:192], v[160:161], v[118:119]
	s_clause 0x1
	scratch_store_b64 off, v[10:11], off offset:156
	scratch_store_b64 off, v[8:9], off offset:148
	v_add_f64 v[10:11], v[167:168], -v[10:11]
	v_mul_f64 v[185:186], v[136:137], s[28:29]
	v_add_f64 v[187:188], v[162:163], v[158:159]
	v_add_f64 v[138:139], v[162:163], -v[158:159]
	scratch_store_b64 off, v[2:3], off offset:196 ; 8-byte Folded Spill
	v_fma_f64 v[2:3], v[171:172], s[12:13], v[2:3]
	s_clause 0x1
	scratch_store_b64 off, v[12:13], off offset:172
	scratch_store_b64 off, v[18:19], off offset:188
	v_add_f64 v[12:13], v[18:19], -v[12:13]
	v_add_f64 v[18:19], v[152:153], -v[156:157]
	s_clause 0x1
	scratch_store_b64 off, v[14:15], off offset:164
	scratch_store_b64 off, v[16:17], off offset:180
	v_mul_f64 v[207:208], v[136:137], s[36:37]
	v_mul_f64 v[225:226], v[136:137], s[26:27]
	;; [unrolled: 1-line block ×3, first 2 shown]
	s_waitcnt vmcnt(0)
	s_waitcnt_vscnt null, 0x0
	s_barrier
	buffer_gl0_inv
	v_mul_f64 v[237:238], v[10:11], s[26:27]
	v_mul_f64 v[144:145], v[10:11], s[28:29]
	;; [unrolled: 1-line block ×15, first 2 shown]
	v_fma_f64 v[8:9], v[175:176], s[12:13], -v[173:174]
	v_fma_f64 v[16:17], v[175:176], s[18:19], -v[205:206]
	v_fma_f64 v[128:129], v[175:176], s[20:21], -v[223:224]
	v_fma_f64 v[132:133], v[175:176], s[16:17], -v[249:250]
	v_mul_f64 v[0:1], v[114:115], v[98:99]
	s_delay_alu instid0(VALU_DEP_1) | instskip(SKIP_1) | instid1(VALU_DEP_1)
	v_fma_f64 v[169:170], v[112:113], v[96:97], -v[0:1]
	v_mul_f64 v[0:1], v[112:113], v[98:99]
	v_fma_f64 v[114:115], v[114:115], v[96:97], v[0:1]
	v_mul_f64 v[0:1], v[110:111], v[102:103]
	s_delay_alu instid0(VALU_DEP_1) | instskip(SKIP_1) | instid1(VALU_DEP_2)
	v_fma_f64 v[112:113], v[108:109], v[100:101], -v[0:1]
	v_mul_f64 v[0:1], v[108:109], v[102:103]
	v_add_f64 v[195:196], v[169:170], v[112:113]
	s_delay_alu instid0(VALU_DEP_2) | instskip(SKIP_2) | instid1(VALU_DEP_3)
	v_fma_f64 v[108:109], v[110:111], v[100:101], v[0:1]
	v_fma_f64 v[0:1], v[235:236], s[14:15], v[233:234]
	v_add_f64 v[110:111], v[169:170], -v[112:113]
	v_add_f64 v[150:151], v[114:115], -v[108:109]
	s_delay_alu instid0(VALU_DEP_3) | instskip(SKIP_1) | instid1(VALU_DEP_4)
	v_add_f64 v[0:1], v[104:105], v[0:1]
	v_add_f64 v[199:200], v[114:115], v[108:109]
	v_mul_f64 v[197:198], v[110:111], s[30:31]
	v_mul_f64 v[221:222], v[110:111], s[38:39]
	;; [unrolled: 1-line block ×4, first 2 shown]
	v_add_f64 v[0:1], v[2:3], v[0:1]
	v_fma_f64 v[2:3], v[239:240], s[14:15], -v[237:238]
	v_mul_f64 v[209:210], v[150:151], s[38:39]
	v_mul_f64 v[219:220], v[150:151], s[28:29]
	s_delay_alu instid0(VALU_DEP_3) | instskip(NEXT) | instid1(VALU_DEP_1)
	v_add_f64 v[2:3], v[106:107], v[2:3]
	v_add_f64 v[2:3], v[8:9], v[2:3]
	v_fma_f64 v[8:9], v[179:180], s[16:17], v[177:178]
	s_delay_alu instid0(VALU_DEP_1) | instskip(SKIP_1) | instid1(VALU_DEP_1)
	v_add_f64 v[0:1], v[8:9], v[0:1]
	v_fma_f64 v[8:9], v[183:184], s[16:17], -v[181:182]
	v_add_f64 v[2:3], v[8:9], v[2:3]
	v_fma_f64 v[8:9], v[187:188], s[18:19], v[185:186]
	s_delay_alu instid0(VALU_DEP_1) | instskip(SKIP_1) | instid1(VALU_DEP_1)
	v_add_f64 v[0:1], v[8:9], v[0:1]
	v_fma_f64 v[8:9], v[191:192], s[18:19], -v[189:190]
	v_add_f64 v[2:3], v[8:9], v[2:3]
	v_fma_f64 v[8:9], v[195:196], s[20:21], v[193:194]
	s_delay_alu instid0(VALU_DEP_1) | instskip(SKIP_2) | instid1(VALU_DEP_2)
	v_add_f64 v[120:121], v[8:9], v[0:1]
	v_fma_f64 v[0:1], v[199:200], s[20:21], -v[197:198]
	v_fma_f64 v[8:9], v[171:172], s[18:19], v[201:202]
	v_add_f64 v[122:123], v[0:1], v[2:3]
	v_mul_f64 v[2:3], v[4:5], s[22:23]
	s_delay_alu instid0(VALU_DEP_1) | instskip(NEXT) | instid1(VALU_DEP_1)
	v_fma_f64 v[0:1], v[235:236], s[12:13], v[2:3]
	v_add_f64 v[0:1], v[104:105], v[0:1]
	s_delay_alu instid0(VALU_DEP_1) | instskip(SKIP_2) | instid1(SALU_CYCLE_1)
	v_add_f64 v[0:1], v[8:9], v[0:1]
	v_mul_f64 v[8:9], v[10:11], s[22:23]
	s_mov_b32 s23, 0x3fed1bb4
	v_mul_f64 v[217:218], v[18:19], s[22:23]
	v_mul_f64 v[227:228], v[22:23], s[22:23]
	;; [unrolled: 1-line block ×5, first 2 shown]
	v_fma_f64 v[14:15], v[239:240], s[12:13], -v[8:9]
	s_delay_alu instid0(VALU_DEP_1) | instskip(NEXT) | instid1(VALU_DEP_1)
	v_add_f64 v[14:15], v[106:107], v[14:15]
	v_add_f64 v[14:15], v[16:17], v[14:15]
	v_fma_f64 v[16:17], v[179:180], s[20:21], v[203:204]
	s_delay_alu instid0(VALU_DEP_1) | instskip(SKIP_1) | instid1(VALU_DEP_1)
	v_add_f64 v[0:1], v[16:17], v[0:1]
	v_fma_f64 v[16:17], v[183:184], s[20:21], -v[213:214]
	v_add_f64 v[14:15], v[16:17], v[14:15]
	v_fma_f64 v[16:17], v[187:188], s[16:17], v[207:208]
	s_delay_alu instid0(VALU_DEP_1) | instskip(SKIP_1) | instid1(VALU_DEP_1)
	v_add_f64 v[0:1], v[16:17], v[0:1]
	v_fma_f64 v[16:17], v[191:192], s[16:17], -v[215:216]
	v_add_f64 v[14:15], v[16:17], v[14:15]
	v_fma_f64 v[16:17], v[195:196], s[14:15], v[209:210]
	s_delay_alu instid0(VALU_DEP_1) | instskip(SKIP_2) | instid1(VALU_DEP_2)
	v_add_f64 v[124:125], v[16:17], v[0:1]
	v_fma_f64 v[0:1], v[199:200], s[14:15], -v[221:222]
	v_fma_f64 v[16:17], v[171:172], s[20:21], v[211:212]
	v_add_f64 v[126:127], v[0:1], v[14:15]
	v_mul_f64 v[14:15], v[4:5], s[24:25]
	v_fma_f64 v[4:5], v[235:236], s[20:21], v[146:147]
	s_delay_alu instid0(VALU_DEP_2) | instskip(NEXT) | instid1(VALU_DEP_2)
	v_fma_f64 v[0:1], v[235:236], s[16:17], v[14:15]
	v_add_f64 v[4:5], v[104:105], v[4:5]
	s_delay_alu instid0(VALU_DEP_2) | instskip(NEXT) | instid1(VALU_DEP_1)
	v_add_f64 v[0:1], v[104:105], v[0:1]
	v_add_f64 v[0:1], v[16:17], v[0:1]
	v_mul_f64 v[16:17], v[10:11], s[24:25]
	v_fma_f64 v[10:11], v[175:176], s[14:15], -v[140:141]
	s_delay_alu instid0(VALU_DEP_2) | instskip(NEXT) | instid1(VALU_DEP_1)
	v_fma_f64 v[20:21], v[239:240], s[16:17], -v[16:17]
	v_add_f64 v[20:21], v[106:107], v[20:21]
	s_delay_alu instid0(VALU_DEP_1) | instskip(SKIP_1) | instid1(VALU_DEP_1)
	v_add_f64 v[20:21], v[128:129], v[20:21]
	v_fma_f64 v[128:129], v[179:180], s[12:13], v[217:218]
	v_add_f64 v[0:1], v[128:129], v[0:1]
	v_fma_f64 v[128:129], v[183:184], s[12:13], -v[227:228]
	s_delay_alu instid0(VALU_DEP_1) | instskip(SKIP_1) | instid1(VALU_DEP_1)
	v_add_f64 v[20:21], v[128:129], v[20:21]
	v_fma_f64 v[128:129], v[187:188], s[14:15], v[225:226]
	v_add_f64 v[0:1], v[128:129], v[0:1]
	v_fma_f64 v[128:129], v[191:192], s[14:15], -v[229:230]
	;; [unrolled: 5-line block ×3, first 2 shown]
	s_delay_alu instid0(VALU_DEP_1) | instskip(SKIP_2) | instid1(VALU_DEP_2)
	v_add_f64 v[130:131], v[0:1], v[20:21]
	v_fma_f64 v[0:1], v[235:236], s[18:19], v[142:143]
	v_fma_f64 v[20:21], v[171:172], s[16:17], v[241:242]
	v_add_f64 v[0:1], v[104:105], v[0:1]
	s_delay_alu instid0(VALU_DEP_1) | instskip(SKIP_1) | instid1(VALU_DEP_1)
	v_add_f64 v[0:1], v[20:21], v[0:1]
	v_fma_f64 v[20:21], v[239:240], s[18:19], -v[144:145]
	v_add_f64 v[20:21], v[106:107], v[20:21]
	s_delay_alu instid0(VALU_DEP_1) | instskip(SKIP_1) | instid1(VALU_DEP_1)
	v_add_f64 v[20:21], v[132:133], v[20:21]
	v_fma_f64 v[132:133], v[179:180], s[14:15], v[243:244]
	v_add_f64 v[0:1], v[132:133], v[0:1]
	v_fma_f64 v[132:133], v[183:184], s[14:15], -v[251:252]
	s_delay_alu instid0(VALU_DEP_1) | instskip(SKIP_1) | instid1(VALU_DEP_1)
	v_add_f64 v[20:21], v[132:133], v[20:21]
	v_fma_f64 v[132:133], v[187:188], s[20:21], v[247:248]
	v_add_f64 v[0:1], v[132:133], v[0:1]
	v_fma_f64 v[132:133], v[191:192], s[20:21], -v[253:254]
	s_delay_alu instid0(VALU_DEP_1) | instskip(SKIP_1) | instid1(VALU_DEP_1)
	v_add_f64 v[20:21], v[132:133], v[20:21]
	v_fma_f64 v[132:133], v[195:196], s[12:13], v[245:246]
	v_add_f64 v[132:133], v[132:133], v[0:1]
	v_mul_f64 v[0:1], v[110:111], s[22:23]
	s_delay_alu instid0(VALU_DEP_1) | instskip(NEXT) | instid1(VALU_DEP_1)
	v_fma_f64 v[134:135], v[199:200], s[12:13], -v[0:1]
	v_add_f64 v[134:135], v[134:135], v[20:21]
	v_mul_f64 v[20:21], v[6:7], s[38:39]
	s_delay_alu instid0(VALU_DEP_1) | instskip(NEXT) | instid1(VALU_DEP_1)
	v_fma_f64 v[6:7], v[171:172], s[14:15], v[20:21]
	v_add_f64 v[4:5], v[6:7], v[4:5]
	v_fma_f64 v[6:7], v[239:240], s[20:21], -v[148:149]
	s_delay_alu instid0(VALU_DEP_1) | instskip(NEXT) | instid1(VALU_DEP_1)
	v_add_f64 v[6:7], v[106:107], v[6:7]
	v_add_f64 v[6:7], v[10:11], v[6:7]
	v_fma_f64 v[10:11], v[179:180], s[18:19], v[18:19]
	s_delay_alu instid0(VALU_DEP_1) | instskip(SKIP_1) | instid1(VALU_DEP_1)
	v_add_f64 v[4:5], v[10:11], v[4:5]
	v_fma_f64 v[10:11], v[183:184], s[18:19], -v[22:23]
	v_add_f64 v[6:7], v[10:11], v[6:7]
	v_mul_f64 v[10:11], v[136:137], s[22:23]
	s_delay_alu instid0(VALU_DEP_1) | instskip(NEXT) | instid1(VALU_DEP_1)
	v_fma_f64 v[12:13], v[187:188], s[12:13], v[10:11]
	v_add_f64 v[136:137], v[12:13], v[4:5]
	v_mul_f64 v[12:13], v[138:139], s[22:23]
	s_delay_alu instid0(VALU_DEP_1) | instskip(NEXT) | instid1(VALU_DEP_1)
	v_fma_f64 v[4:5], v[191:192], s[12:13], -v[12:13]
	v_add_f64 v[138:139], v[4:5], v[6:7]
	v_mul_f64 v[4:5], v[150:151], s[24:25]
	v_mul_f64 v[6:7], v[110:111], s[24:25]
	s_delay_alu instid0(VALU_DEP_2) | instskip(NEXT) | instid1(VALU_DEP_1)
	v_fma_f64 v[110:111], v[195:196], s[16:17], v[4:5]
	v_add_f64 v[136:137], v[110:111], v[136:137]
	s_delay_alu instid0(VALU_DEP_3) | instskip(NEXT) | instid1(VALU_DEP_1)
	v_fma_f64 v[110:111], v[199:200], s[16:17], -v[6:7]
	v_add_f64 v[138:139], v[110:111], v[138:139]
	v_and_b32_e32 v110, 0xffff, v255
	scratch_load_b32 v255, off, off offset:116 ; 4-byte Folded Reload
	scratch_store_b32 off, v110, off offset:120 ; 4-byte Folded Spill
	s_waitcnt vmcnt(0)
	v_add_nc_u32_e32 v110, 0x39c0, v255
	scratch_store_b32 off, v110, off offset:136 ; 4-byte Folded Spill
	s_and_saveexec_b32 s1, s0
	s_cbranch_execz .LBB0_9
; %bb.8:
	v_mul_f64 v[110:111], v[239:240], s[20:21]
	v_mul_f64 v[150:151], v[235:236], s[14:15]
	v_add_f64 v[165:166], v[106:107], v[165:166]
	v_add_f64 v[167:168], v[104:105], v[167:168]
	s_delay_alu instid0(VALU_DEP_4) | instskip(SKIP_2) | instid1(VALU_DEP_3)
	v_add_f64 v[110:111], v[148:149], v[110:111]
	v_mul_f64 v[148:149], v[235:236], s[20:21]
	v_add_f64 v[150:151], v[150:151], -v[233:234]
	v_add_f64 v[110:111], v[106:107], v[110:111]
	s_delay_alu instid0(VALU_DEP_3) | instskip(SKIP_1) | instid1(VALU_DEP_2)
	v_add_f64 v[146:147], v[148:149], -v[146:147]
	v_mul_f64 v[148:149], v[239:240], s[18:19]
	v_add_f64 v[146:147], v[104:105], v[146:147]
	s_delay_alu instid0(VALU_DEP_2) | instskip(SKIP_1) | instid1(VALU_DEP_2)
	v_add_f64 v[144:145], v[144:145], v[148:149]
	v_mul_f64 v[148:149], v[235:236], s[18:19]
	v_add_f64 v[144:145], v[106:107], v[144:145]
	s_delay_alu instid0(VALU_DEP_2) | instskip(SKIP_1) | instid1(VALU_DEP_2)
	v_add_f64 v[142:143], v[148:149], -v[142:143]
	v_mul_f64 v[148:149], v[239:240], s[16:17]
	v_add_f64 v[142:143], v[104:105], v[142:143]
	s_delay_alu instid0(VALU_DEP_2) | instskip(SKIP_1) | instid1(VALU_DEP_2)
	v_add_f64 v[16:17], v[16:17], v[148:149]
	v_mul_f64 v[148:149], v[239:240], s[12:13]
	v_add_f64 v[16:17], v[106:107], v[16:17]
	s_delay_alu instid0(VALU_DEP_2) | instskip(SKIP_1) | instid1(VALU_DEP_2)
	v_add_f64 v[8:9], v[8:9], v[148:149]
	v_mul_f64 v[148:149], v[235:236], s[12:13]
	v_add_f64 v[233:234], v[106:107], v[8:9]
	v_mul_f64 v[8:9], v[171:172], s[14:15]
	s_delay_alu instid0(VALU_DEP_3) | instskip(SKIP_1) | instid1(VALU_DEP_3)
	v_add_f64 v[2:3], v[148:149], -v[2:3]
	v_mul_f64 v[148:149], v[235:236], s[16:17]
	v_add_f64 v[8:9], v[8:9], -v[20:21]
	v_mul_f64 v[20:21], v[183:184], s[18:19]
	s_delay_alu instid0(VALU_DEP_4)
	v_add_f64 v[235:236], v[104:105], v[2:3]
	v_mul_f64 v[2:3], v[175:176], s[14:15]
	v_add_f64 v[14:15], v[148:149], -v[14:15]
	v_mul_f64 v[148:149], v[239:240], s[14:15]
	v_add_f64 v[8:9], v[8:9], v[146:147]
	v_add_f64 v[20:21], v[22:23], v[20:21]
	v_mul_f64 v[22:23], v[179:180], s[18:19]
	v_add_f64 v[2:3], v[140:141], v[2:3]
	v_add_f64 v[14:15], v[104:105], v[14:15]
	;; [unrolled: 3-line block ×3, first 2 shown]
	v_add_f64 v[18:19], v[22:23], -v[18:19]
	v_mul_f64 v[22:23], v[191:192], s[12:13]
	v_add_f64 v[2:3], v[2:3], v[110:111]
	v_mul_f64 v[110:111], v[199:200], s[14:15]
	v_add_f64 v[140:141], v[140:141], -v[225:226]
	v_add_f64 v[106:107], v[106:107], v[148:149]
	v_add_f64 v[8:9], v[18:19], v[8:9]
	;; [unrolled: 1-line block ×3, first 2 shown]
	v_mul_f64 v[22:23], v[187:188], s[12:13]
	v_add_f64 v[2:3], v[20:21], v[2:3]
	v_mul_f64 v[18:19], v[195:196], s[16:17]
	v_mul_f64 v[20:21], v[187:188], s[20:21]
	v_add_f64 v[110:111], v[221:222], v[110:111]
	v_add_f64 v[10:11], v[22:23], -v[10:11]
	v_mul_f64 v[22:23], v[199:200], s[16:17]
	v_add_f64 v[2:3], v[12:13], v[2:3]
	v_add_f64 v[18:19], v[18:19], -v[4:5]
	v_mul_f64 v[12:13], v[179:180], s[14:15]
	v_add_f64 v[20:21], v[20:21], -v[247:248]
	v_add_f64 v[8:9], v[10:11], v[8:9]
	v_add_f64 v[6:7], v[6:7], v[22:23]
	v_mul_f64 v[10:11], v[183:184], s[14:15]
	v_mul_f64 v[22:23], v[199:200], s[12:13]
	v_add_f64 v[12:13], v[12:13], -v[243:244]
	s_delay_alu instid0(VALU_DEP_4)
	v_add_f64 v[4:5], v[6:7], v[2:3]
	v_mul_f64 v[6:7], v[175:176], s[16:17]
	v_add_f64 v[2:3], v[18:19], v[8:9]
	v_mul_f64 v[8:9], v[171:172], s[16:17]
	;; [unrolled: 2-line block ×4, first 2 shown]
	v_add_f64 v[6:7], v[249:250], v[6:7]
	v_add_f64 v[8:9], v[8:9], -v[241:242]
	v_add_f64 v[18:19], v[253:254], v[18:19]
	s_delay_alu instid0(VALU_DEP_4) | instskip(NEXT) | instid1(VALU_DEP_4)
	v_add_f64 v[22:23], v[22:23], -v[207:208]
	v_add_f64 v[6:7], v[6:7], v[144:145]
	s_delay_alu instid0(VALU_DEP_4) | instskip(NEXT) | instid1(VALU_DEP_2)
	v_add_f64 v[8:9], v[8:9], v[142:143]
	v_add_f64 v[6:7], v[10:11], v[6:7]
	v_mul_f64 v[10:11], v[195:196], s[12:13]
	s_delay_alu instid0(VALU_DEP_3) | instskip(NEXT) | instid1(VALU_DEP_3)
	v_add_f64 v[8:9], v[12:13], v[8:9]
	v_add_f64 v[6:7], v[18:19], v[6:7]
	s_delay_alu instid0(VALU_DEP_3) | instskip(NEXT) | instid1(VALU_DEP_3)
	v_add_f64 v[10:11], v[10:11], -v[245:246]
	v_add_f64 v[12:13], v[20:21], v[8:9]
	v_mul_f64 v[20:21], v[191:192], s[16:17]
	v_mul_f64 v[18:19], v[179:180], s[20:21]
	v_add_f64 v[8:9], v[0:1], v[6:7]
	v_mul_f64 v[0:1], v[175:176], s[18:19]
	v_add_f64 v[6:7], v[10:11], v[12:13]
	v_mul_f64 v[12:13], v[183:184], s[20:21]
	v_mul_f64 v[10:11], v[171:172], s[18:19]
	v_add_f64 v[20:21], v[215:216], v[20:21]
	v_add_f64 v[18:19], v[18:19], -v[203:204]
	v_add_f64 v[0:1], v[205:206], v[0:1]
	v_add_f64 v[12:13], v[213:214], v[12:13]
	v_add_f64 v[10:11], v[10:11], -v[201:202]
	s_delay_alu instid0(VALU_DEP_3) | instskip(NEXT) | instid1(VALU_DEP_2)
	v_add_f64 v[0:1], v[0:1], v[233:234]
	v_add_f64 v[10:11], v[10:11], v[235:236]
	s_delay_alu instid0(VALU_DEP_2) | instskip(SKIP_1) | instid1(VALU_DEP_3)
	v_add_f64 v[0:1], v[12:13], v[0:1]
	v_mul_f64 v[12:13], v[195:196], s[14:15]
	v_add_f64 v[10:11], v[18:19], v[10:11]
	s_delay_alu instid0(VALU_DEP_3) | instskip(NEXT) | instid1(VALU_DEP_3)
	v_add_f64 v[0:1], v[20:21], v[0:1]
	v_add_f64 v[18:19], v[12:13], -v[209:210]
	v_mul_f64 v[20:21], v[183:184], s[12:13]
	s_delay_alu instid0(VALU_DEP_4)
	v_add_f64 v[10:11], v[22:23], v[10:11]
	v_mul_f64 v[22:23], v[179:180], s[12:13]
	v_add_f64 v[12:13], v[110:111], v[0:1]
	v_mul_f64 v[0:1], v[175:176], s[20:21]
	v_add_f64 v[20:21], v[227:228], v[20:21]
	v_add_f64 v[10:11], v[18:19], v[10:11]
	v_mul_f64 v[18:19], v[171:172], s[20:21]
	v_add_f64 v[22:23], v[22:23], -v[217:218]
	v_mul_f64 v[110:111], v[191:192], s[14:15]
	v_add_f64 v[0:1], v[223:224], v[0:1]
	s_delay_alu instid0(VALU_DEP_4) | instskip(NEXT) | instid1(VALU_DEP_3)
	v_add_f64 v[18:19], v[18:19], -v[211:212]
	v_add_f64 v[110:111], v[229:230], v[110:111]
	s_delay_alu instid0(VALU_DEP_3) | instskip(SKIP_1) | instid1(VALU_DEP_4)
	v_add_f64 v[0:1], v[0:1], v[16:17]
	v_mul_f64 v[16:17], v[199:200], s[18:19]
	v_add_f64 v[14:15], v[18:19], v[14:15]
	v_mul_f64 v[18:19], v[195:196], s[18:19]
	s_delay_alu instid0(VALU_DEP_4)
	v_add_f64 v[0:1], v[20:21], v[0:1]
	scratch_load_b64 v[20:21], off, off offset:196 ; 8-byte Folded Reload
	v_add_f64 v[16:17], v[231:232], v[16:17]
	v_add_f64 v[14:15], v[22:23], v[14:15]
	v_add_f64 v[18:19], v[18:19], -v[219:220]
	v_mul_f64 v[22:23], v[179:180], s[16:17]
	v_add_f64 v[0:1], v[110:111], v[0:1]
	v_mul_f64 v[110:111], v[191:192], s[18:19]
	v_add_f64 v[14:15], v[140:141], v[14:15]
	v_mul_f64 v[140:141], v[187:188], s[18:19]
	v_add_f64 v[22:23], v[22:23], -v[177:178]
	v_add_f64 v[16:17], v[16:17], v[0:1]
	v_mul_f64 v[0:1], v[175:176], s[12:13]
	v_add_f64 v[110:111], v[189:190], v[110:111]
	v_add_f64 v[14:15], v[18:19], v[14:15]
	v_mul_f64 v[18:19], v[171:172], s[12:13]
	v_add_f64 v[140:141], v[140:141], -v[185:186]
	v_add_f64 v[0:1], v[173:174], v[0:1]
	s_delay_alu instid0(VALU_DEP_1) | instskip(SKIP_1) | instid1(VALU_DEP_4)
	v_add_f64 v[0:1], v[0:1], v[106:107]
	s_waitcnt vmcnt(0)
	v_add_f64 v[18:19], v[18:19], -v[20:21]
	v_mul_f64 v[20:21], v[183:184], s[16:17]
	s_delay_alu instid0(VALU_DEP_2) | instskip(NEXT) | instid1(VALU_DEP_2)
	v_add_f64 v[18:19], v[18:19], v[104:105]
	v_add_f64 v[20:21], v[181:182], v[20:21]
	v_mul_f64 v[104:105], v[199:200], s[20:21]
	s_delay_alu instid0(VALU_DEP_3) | instskip(NEXT) | instid1(VALU_DEP_3)
	v_add_f64 v[18:19], v[22:23], v[18:19]
	v_add_f64 v[0:1], v[20:21], v[0:1]
	s_delay_alu instid0(VALU_DEP_3) | instskip(SKIP_1) | instid1(VALU_DEP_4)
	v_add_f64 v[104:105], v[197:198], v[104:105]
	v_mul_f64 v[20:21], v[195:196], s[20:21]
	v_add_f64 v[18:19], v[140:141], v[18:19]
	s_delay_alu instid0(VALU_DEP_4) | instskip(NEXT) | instid1(VALU_DEP_3)
	v_add_f64 v[0:1], v[110:111], v[0:1]
	v_add_f64 v[22:23], v[20:21], -v[193:194]
	s_delay_alu instid0(VALU_DEP_2)
	v_add_f64 v[20:21], v[104:105], v[0:1]
	s_clause 0x1
	scratch_load_b64 v[0:1], off, off offset:180
	scratch_load_b64 v[104:105], off, off offset:164
	v_add_f64 v[18:19], v[22:23], v[18:19]
	scratch_load_b64 v[22:23], off, off offset:188 ; 8-byte Folded Reload
	s_waitcnt vmcnt(2)
	v_add_f64 v[0:1], v[165:166], v[0:1]
	s_delay_alu instid0(VALU_DEP_1) | instskip(NEXT) | instid1(VALU_DEP_1)
	v_add_f64 v[0:1], v[0:1], v[152:153]
	v_add_f64 v[0:1], v[0:1], v[160:161]
	s_delay_alu instid0(VALU_DEP_1) | instskip(NEXT) | instid1(VALU_DEP_1)
	v_add_f64 v[0:1], v[0:1], v[114:115]
	v_add_f64 v[0:1], v[0:1], v[108:109]
	s_delay_alu instid0(VALU_DEP_1) | instskip(NEXT) | instid1(VALU_DEP_1)
	v_add_f64 v[0:1], v[0:1], v[118:119]
	v_add_f64 v[0:1], v[0:1], v[156:157]
	s_waitcnt vmcnt(1)
	s_delay_alu instid0(VALU_DEP_1) | instskip(SKIP_3) | instid1(VALU_DEP_1)
	v_add_f64 v[0:1], v[0:1], v[104:105]
	scratch_load_b64 v[104:105], off, off offset:172 ; 8-byte Folded Reload
	s_waitcnt vmcnt(1)
	v_add_f64 v[22:23], v[167:168], v[22:23]
	v_add_f64 v[22:23], v[22:23], v[154:155]
	s_delay_alu instid0(VALU_DEP_1) | instskip(NEXT) | instid1(VALU_DEP_1)
	v_add_f64 v[22:23], v[22:23], v[162:163]
	v_add_f64 v[22:23], v[22:23], v[169:170]
	s_delay_alu instid0(VALU_DEP_1) | instskip(NEXT) | instid1(VALU_DEP_1)
	v_add_f64 v[22:23], v[22:23], v[112:113]
	v_add_f64 v[22:23], v[22:23], v[158:159]
	s_delay_alu instid0(VALU_DEP_1) | instskip(SKIP_1) | instid1(VALU_DEP_1)
	v_add_f64 v[22:23], v[22:23], v[116:117]
	s_waitcnt vmcnt(0)
	v_add_f64 v[22:23], v[22:23], v[104:105]
	scratch_load_b64 v[104:105], off, off offset:148 ; 8-byte Folded Reload
	s_waitcnt vmcnt(0)
	v_add_f64 v[106:107], v[0:1], v[104:105]
	scratch_load_b64 v[0:1], off, off offset:156 ; 8-byte Folded Reload
	s_waitcnt vmcnt(0)
	v_add_f64 v[104:105], v[22:23], v[0:1]
	s_clause 0x1
	scratch_load_b32 v0, off, off offset:120
	scratch_load_b32 v1, off, off offset:108
	s_waitcnt vmcnt(1)
	v_mul_u32_u24_e32 v0, 0x1ce, v0
	s_waitcnt vmcnt(0)
	s_delay_alu instid0(VALU_DEP_1)
	v_add_lshl_u32 v0, v0, v1, 4
	ds_store_b128 v0, v[10:13] offset:1344
	ds_store_b128 v0, v[136:139] offset:4032
	;; [unrolled: 1-line block ×9, first 2 shown]
	ds_store_b128 v0, v[104:107]
	ds_store_b128 v0, v[120:123] offset:6720
.LBB0_9:
	s_or_b32 exec_lo, exec_lo, s1
	scratch_load_b32 v0, off, off offset:132 ; 4-byte Folded Reload
	s_waitcnt vmcnt(0) lgkmcnt(0)
	s_waitcnt_vscnt null, 0x0
	s_barrier
	buffer_gl0_inv
	scratch_load_b32 v177, off, off offset:112 ; 4-byte Folded Reload
	s_mov_b32 s13, 0xbfebb67a
	v_lshlrev_b32_e32 v0, 4, v0
	s_delay_alu instid0(VALU_DEP_1) | instskip(NEXT) | instid1(VALU_DEP_1)
	v_add_co_u32 v6, s1, s10, v0
	v_add_co_ci_u32_e64 v7, null, s11, 0, s1
	s_waitcnt vmcnt(0)
	v_add_co_u32 v4, s1, s10, v177
	s_delay_alu instid0(VALU_DEP_1) | instskip(SKIP_1) | instid1(VALU_DEP_1)
	v_add_co_ci_u32_e64 v5, null, s11, 0, s1
	v_add_co_u32 v0, s1, 0x1000, v6
	v_add_co_ci_u32_e64 v1, s1, 0, v7, s1
	s_delay_alu instid0(VALU_DEP_4) | instskip(NEXT) | instid1(VALU_DEP_1)
	v_add_co_u32 v2, s1, 0x1000, v4
	v_add_co_ci_u32_e64 v3, s1, 0, v5, s1
	v_add_co_u32 v4, s1, 0x1cc0, v4
	s_delay_alu instid0(VALU_DEP_1) | instskip(SKIP_2) | instid1(VALU_DEP_1)
	v_add_co_ci_u32_e64 v5, s1, 0, v5, s1
	global_load_b128 v[104:107], v[2:3], off offset:3264
	v_add_co_u32 v2, s1, 0x1cc0, v6
	v_add_co_ci_u32_e64 v3, s1, 0, v7, s1
	s_clause 0x2
	global_load_b128 v[108:111], v[4:5], off offset:16
	global_load_b128 v[116:119], v[0:1], off offset:3264
	;; [unrolled: 1-line block ×3, first 2 shown]
	ds_load_b128 v[0:3], v164 offset:11088
	ds_load_b128 v[4:7], v164 offset:18480
	;; [unrolled: 1-line block ×4, first 2 shown]
	s_mov_b32 s10, 0xe8584caa
	s_mov_b32 s11, 0x3febb67a
	;; [unrolled: 1-line block ×3, first 2 shown]
	s_waitcnt vmcnt(3) lgkmcnt(3)
	v_mul_f64 v[16:17], v[2:3], v[106:107]
	v_mul_f64 v[18:19], v[0:1], v[106:107]
	s_waitcnt vmcnt(2) lgkmcnt(2)
	v_mul_f64 v[20:21], v[6:7], v[110:111]
	v_mul_f64 v[22:23], v[4:5], v[110:111]
	;; [unrolled: 3-line block ×4, first 2 shown]
	v_fma_f64 v[16:17], v[0:1], v[104:105], -v[16:17]
	v_fma_f64 v[18:19], v[2:3], v[104:105], v[18:19]
	v_fma_f64 v[20:21], v[4:5], v[108:109], -v[20:21]
	v_fma_f64 v[22:23], v[6:7], v[108:109], v[22:23]
	ds_load_b128 v[0:3], v164 offset:3696
	ds_load_b128 v[4:7], v164
	scratch_load_b32 v217, off, off offset:8 ; 4-byte Folded Reload
	v_fma_f64 v[8:9], v[8:9], v[116:117], -v[140:141]
	v_fma_f64 v[10:11], v[10:11], v[116:117], v[142:143]
	v_fma_f64 v[12:13], v[12:13], v[112:113], -v[144:145]
	v_fma_f64 v[14:15], v[14:15], v[112:113], v[146:147]
	s_waitcnt lgkmcnt(1)
	v_add_f64 v[148:149], v[0:1], v[16:17]
	v_add_f64 v[140:141], v[16:17], v[20:21]
	;; [unrolled: 1-line block ×3, first 2 shown]
	v_add_f64 v[152:153], v[16:17], -v[20:21]
	v_add_f64 v[150:151], v[18:19], -v[22:23]
	s_waitcnt lgkmcnt(0)
	v_add_f64 v[16:17], v[4:5], v[8:9]
	v_add_f64 v[18:19], v[2:3], v[18:19]
	;; [unrolled: 1-line block ×4, first 2 shown]
	v_add_f64 v[154:155], v[10:11], -v[14:15]
	v_add_f64 v[10:11], v[6:7], v[10:11]
	v_add_f64 v[156:157], v[8:9], -v[12:13]
	v_fma_f64 v[140:141], v[140:141], -0.5, v[0:1]
	v_fma_f64 v[142:143], v[142:143], -0.5, v[2:3]
	v_add_f64 v[0:1], v[148:149], v[20:21]
	v_add_f64 v[2:3], v[18:19], v[22:23]
	v_fma_f64 v[144:145], v[144:145], -0.5, v[4:5]
	v_fma_f64 v[146:147], v[146:147], -0.5, v[6:7]
	v_add_f64 v[4:5], v[16:17], v[12:13]
	v_add_f64 v[6:7], v[10:11], v[14:15]
	v_fma_f64 v[8:9], v[150:151], s[10:11], v[140:141]
	v_fma_f64 v[10:11], v[152:153], s[12:13], v[142:143]
	;; [unrolled: 1-line block ×8, first 2 shown]
	ds_store_b128 v164, v[4:7]
	ds_store_b128 v164, v[0:3] offset:3696
	ds_store_b128 v164, v[16:19] offset:7392
	ds_store_b128 v164, v[8:11] offset:11088
	ds_store_b128 v164, v[20:23] offset:14784
	ds_store_b128 v164, v[12:15] offset:18480
	s_waitcnt vmcnt(0) lgkmcnt(0)
	s_barrier
	buffer_gl0_inv
	v_lshlrev_b32_e32 v140, 4, v217
	s_delay_alu instid0(VALU_DEP_1) | instskip(NEXT) | instid1(VALU_DEP_1)
	v_add_co_u32 v148, s1, s8, v140
	v_add_co_ci_u32_e64 v149, null, s9, 0, s1
	s_delay_alu instid0(VALU_DEP_2) | instskip(NEXT) | instid1(VALU_DEP_1)
	v_add_co_u32 v140, s1, 0x56a0, v148
	v_add_co_ci_u32_e64 v141, s1, 0, v149, s1
	v_add_co_u32 v142, s1, 0x5000, v148
	s_delay_alu instid0(VALU_DEP_1) | instskip(SKIP_1) | instid1(VALU_DEP_1)
	v_add_co_ci_u32_e64 v143, s1, 0, v149, s1
	v_add_co_u32 v144, s1, 0x8000, v148
	v_add_co_ci_u32_e64 v145, s1, 0, v149, s1
	v_add_co_u32 v146, s1, 0x9000, v148
	s_delay_alu instid0(VALU_DEP_1)
	v_add_co_ci_u32_e64 v147, s1, 0, v149, s1
	v_add_co_u32 v16, s1, 0x7000, v148
	s_clause 0x1
	global_load_b128 v[0:3], v[142:143], off offset:1696
	global_load_b128 v[4:7], v[144:145], off offset:496
	v_add_co_ci_u32_e64 v17, s1, 0, v149, s1
	s_clause 0x3
	global_load_b128 v[8:11], v[140:141], off offset:3696
	global_load_b128 v[12:15], v[146:147], off offset:96
	;; [unrolled: 1-line block ×4, first 2 shown]
	ds_load_b128 v[140:143], v164
	ds_load_b128 v[144:147], v164 offset:11088
	ds_load_b128 v[148:151], v164 offset:3696
	;; [unrolled: 1-line block ×5, first 2 shown]
	s_waitcnt vmcnt(5) lgkmcnt(5)
	v_mul_f64 v[165:166], v[142:143], v[2:3]
	v_mul_f64 v[2:3], v[140:141], v[2:3]
	s_waitcnt vmcnt(4) lgkmcnt(4)
	v_mul_f64 v[167:168], v[146:147], v[6:7]
	v_mul_f64 v[6:7], v[144:145], v[6:7]
	;; [unrolled: 3-line block ×6, first 2 shown]
	v_fma_f64 v[140:141], v[140:141], v[0:1], -v[165:166]
	v_fma_f64 v[142:143], v[142:143], v[0:1], v[2:3]
	v_fma_f64 v[0:1], v[144:145], v[4:5], -v[167:168]
	v_fma_f64 v[2:3], v[146:147], v[4:5], v[6:7]
	;; [unrolled: 2-line block ×6, first 2 shown]
	ds_store_b128 v164, v[140:143]
	ds_store_b128 v164, v[4:7] offset:3696
	ds_store_b128 v164, v[0:3] offset:11088
	;; [unrolled: 1-line block ×5, first 2 shown]
	s_waitcnt lgkmcnt(0)
	s_barrier
	buffer_gl0_inv
	ds_load_b128 v[0:3], v164 offset:11088
	ds_load_b128 v[4:7], v164
	ds_load_b128 v[8:11], v164 offset:3696
	ds_load_b128 v[12:15], v164 offset:14784
	;; [unrolled: 1-line block ×4, first 2 shown]
	s_waitcnt lgkmcnt(0)
	s_barrier
	buffer_gl0_inv
	v_add_f64 v[144:145], v[4:5], -v[0:1]
	v_add_f64 v[146:147], v[6:7], -v[2:3]
	v_add_f64 v[148:149], v[8:9], -v[12:13]
	v_add_f64 v[150:151], v[10:11], -v[14:15]
	v_add_f64 v[160:161], v[16:17], -v[20:21]
	v_add_f64 v[162:163], v[18:19], -v[22:23]
	v_fma_f64 v[140:141], v[4:5], 2.0, -v[144:145]
	v_fma_f64 v[142:143], v[6:7], 2.0, -v[146:147]
	;; [unrolled: 1-line block ×6, first 2 shown]
	ds_store_b128 v255, v[140:143]
	ds_store_b128 v255, v[144:147] offset:16
	ds_store_b128 v177, v[152:155]
	ds_store_b128 v177, v[148:151] offset:16
	scratch_load_b32 v0, off, off offset:136 ; 4-byte Folded Reload
	s_waitcnt vmcnt(0)
	ds_store_b128 v0, v[156:159]
	ds_store_b128 v0, v[160:163] offset:16
	s_waitcnt lgkmcnt(0)
	s_barrier
	buffer_gl0_inv
	s_and_saveexec_b32 s1, vcc_lo
	s_cbranch_execz .LBB0_11
; %bb.10:
	ds_load_b128 v[140:143], v164
	ds_load_b128 v[144:147], v164 offset:3168
	ds_load_b128 v[152:155], v164 offset:6336
	;; [unrolled: 1-line block ×6, first 2 shown]
.LBB0_11:
	s_or_b32 exec_lo, exec_lo, s1
	s_waitcnt lgkmcnt(5)
	v_mul_f64 v[0:1], v[30:31], v[146:147]
	v_mul_f64 v[2:3], v[30:31], v[144:145]
	s_waitcnt lgkmcnt(4)
	v_mul_f64 v[4:5], v[26:27], v[154:155]
	v_mul_f64 v[6:7], v[26:27], v[152:153]
	;; [unrolled: 3-line block ×3, first 2 shown]
	v_mul_f64 v[12:13], v[46:47], v[162:163]
	v_mul_f64 v[14:15], v[46:47], v[160:161]
	;; [unrolled: 1-line block ×6, first 2 shown]
	s_mov_b32 s8, 0x37e14327
	s_mov_b32 s10, 0xb247c609
	;; [unrolled: 1-line block ×6, first 2 shown]
	s_barrier
	buffer_gl0_inv
	v_fma_f64 v[26:27], v[28:29], v[144:145], v[0:1]
	v_fma_f64 v[2:3], v[28:29], v[146:147], -v[2:3]
	v_fma_f64 v[28:29], v[24:25], v[152:153], v[4:5]
	v_fma_f64 v[24:25], v[24:25], v[154:155], -v[6:7]
	;; [unrolled: 2-line block ×6, first 2 shown]
	v_add_f64 v[0:1], v[26:27], v[8:9]
	v_add_f64 v[6:7], v[2:3], v[30:31]
	;; [unrolled: 1-line block ×4, first 2 shown]
	v_add_f64 v[12:13], v[26:27], -v[8:9]
	v_add_f64 v[2:3], v[2:3], -v[30:31]
	v_add_f64 v[26:27], v[16:17], v[20:21]
	v_add_f64 v[30:31], v[18:19], v[22:23]
	v_add_f64 v[16:17], v[20:21], -v[16:17]
	v_add_f64 v[18:19], v[22:23], -v[18:19]
	;; [unrolled: 1-line block ×4, first 2 shown]
	v_add_f64 v[22:23], v[4:5], v[0:1]
	v_add_f64 v[34:35], v[10:11], v[6:7]
	v_add_f64 v[14:15], v[0:1], -v[26:27]
	v_add_f64 v[24:25], v[6:7], -v[30:31]
	;; [unrolled: 1-line block ×6, first 2 shown]
	v_add_f64 v[144:145], v[18:19], v[8:9]
	v_add_f64 v[44:45], v[16:17], -v[20:21]
	v_add_f64 v[42:43], v[18:19], -v[8:9]
	v_add_f64 v[22:23], v[26:27], v[22:23]
	v_add_f64 v[46:47], v[30:31], v[34:35]
	;; [unrolled: 1-line block ×3, first 2 shown]
	v_mul_f64 v[32:33], v[14:15], s[8:9]
	v_mul_f64 v[34:35], v[24:25], s[8:9]
	;; [unrolled: 1-line block ×4, first 2 shown]
	s_mov_b32 s8, 0x36b3c0b5
	s_mov_b32 s10, 0xe976ee23
	;; [unrolled: 1-line block ×4, first 2 shown]
	v_add_f64 v[24:25], v[140:141], v[22:23]
	v_add_f64 v[26:27], v[142:143], v[46:47]
	;; [unrolled: 1-line block ×4, first 2 shown]
	v_fma_f64 v[16:17], v[36:37], s[8:9], v[32:33]
	v_fma_f64 v[28:29], v[38:39], s[8:9], v[34:35]
	;; [unrolled: 1-line block ×6, first 2 shown]
	s_mov_b32 s12, 0x37c3f68c
	s_mov_b32 s13, 0xbfdc38aa
	s_delay_alu instid0(VALU_DEP_4) | instid1(SALU_CYCLE_1)
	v_fma_f64 v[18:19], v[140:141], s[12:13], v[14:15]
	s_delay_alu instid0(VALU_DEP_4) | instskip(NEXT) | instid1(VALU_DEP_4)
	v_fma_f64 v[14:15], v[142:143], s[12:13], v[30:31]
	v_add_f64 v[16:17], v[16:17], v[40:41]
	s_delay_alu instid0(VALU_DEP_4) | instskip(NEXT) | instid1(VALU_DEP_2)
	v_add_f64 v[22:23], v[28:29], v[46:47]
	v_add_f64 v[28:29], v[16:17], -v[14:15]
	s_delay_alu instid0(VALU_DEP_2)
	v_add_f64 v[30:31], v[18:19], v[22:23]
	s_and_saveexec_b32 s1, vcc_lo
	s_cbranch_execz .LBB0_13
; %bb.12:
	v_add_f64 v[12:13], v[20:21], -v[12:13]
	v_add_f64 v[6:7], v[10:11], -v[6:7]
	;; [unrolled: 1-line block ×4, first 2 shown]
	v_mul_f64 v[4:5], v[38:39], s[8:9]
	v_mul_f64 v[8:9], v[44:45], s[10:11]
	;; [unrolled: 1-line block ×4, first 2 shown]
	s_mov_b32 s9, 0x3febfeb5
	s_mov_b32 s8, 0x429ad128
	;; [unrolled: 1-line block ×4, first 2 shown]
	v_mul_f64 v[36:37], v[140:141], s[12:13]
	v_mul_f64 v[38:39], v[142:143], s[12:13]
	v_fma_f64 v[42:43], v[12:13], s[8:9], -v[138:139]
	v_fma_f64 v[34:35], v[6:7], s[10:11], -v[34:35]
	;; [unrolled: 1-line block ×4, first 2 shown]
	s_mov_b32 s11, 0x3fe77f67
	s_mov_b32 s9, 0xbfebfeb5
	v_fma_f64 v[4:5], v[6:7], s[10:11], -v[4:5]
	v_fma_f64 v[6:7], v[12:13], s[8:9], -v[8:9]
	;; [unrolled: 1-line block ×4, first 2 shown]
	v_add_f64 v[8:9], v[36:37], v[42:43]
	v_add_f64 v[10:11], v[34:35], v[46:47]
	;; [unrolled: 1-line block ×8, first 2 shown]
	v_add_f64 v[2:3], v[22:23], -v[18:19]
	v_add_f64 v[0:1], v[14:15], v[16:17]
	v_add_f64 v[6:7], v[8:9], v[10:11]
	v_add_f64 v[10:11], v[10:11], -v[8:9]
	v_add_f64 v[8:9], v[32:33], v[20:21]
	v_add_f64 v[14:15], v[4:5], -v[12:13]
	;; [unrolled: 2-line block ×3, first 2 shown]
	s_clause 0x1
	scratch_load_b32 v20, off, off offset:144
	scratch_load_b32 v21, off, off offset:140
	v_add_f64 v[16:17], v[34:35], -v[36:37]
	v_add_f64 v[12:13], v[36:37], v[34:35]
	s_waitcnt vmcnt(1)
	v_mul_u32_u24_e32 v20, 14, v20
	s_waitcnt vmcnt(0)
	s_delay_alu instid0(VALU_DEP_1) | instskip(NEXT) | instid1(VALU_DEP_1)
	v_or_b32_e32 v20, v20, v21
	v_lshlrev_b32_e32 v20, 4, v20
	ds_store_b128 v20, v[24:27]
	ds_store_b128 v20, v[0:3] offset:32
	ds_store_b128 v20, v[8:11] offset:64
	;; [unrolled: 1-line block ×6, first 2 shown]
.LBB0_13:
	s_or_b32 exec_lo, exec_lo, s1
	s_waitcnt lgkmcnt(0)
	s_barrier
	buffer_gl0_inv
	ds_load_b128 v[0:3], v164 offset:7392
	ds_load_b128 v[4:7], v164 offset:14784
	;; [unrolled: 1-line block ×4, first 2 shown]
	s_mov_b32 s8, 0xe8584caa
	s_mov_b32 s9, 0xbfebb67a
	;; [unrolled: 1-line block ×4, first 2 shown]
	s_waitcnt lgkmcnt(3)
	v_mul_f64 v[16:17], v[58:59], v[2:3]
	s_waitcnt lgkmcnt(2)
	v_mul_f64 v[18:19], v[54:55], v[6:7]
	v_mul_f64 v[20:21], v[58:59], v[0:1]
	;; [unrolled: 1-line block ×3, first 2 shown]
	s_waitcnt lgkmcnt(1)
	v_mul_f64 v[24:25], v[66:67], v[10:11]
	s_waitcnt lgkmcnt(0)
	v_mul_f64 v[26:27], v[62:63], v[14:15]
	v_mul_f64 v[32:33], v[66:67], v[8:9]
	;; [unrolled: 1-line block ×3, first 2 shown]
	v_fma_f64 v[16:17], v[56:57], v[0:1], v[16:17]
	v_fma_f64 v[18:19], v[52:53], v[4:5], v[18:19]
	v_fma_f64 v[20:21], v[56:57], v[2:3], -v[20:21]
	v_fma_f64 v[22:23], v[52:53], v[6:7], -v[22:23]
	v_fma_f64 v[8:9], v[64:65], v[8:9], v[24:25]
	v_fma_f64 v[12:13], v[60:61], v[12:13], v[26:27]
	ds_load_b128 v[0:3], v164
	ds_load_b128 v[4:7], v164 offset:3696
	v_fma_f64 v[10:11], v[64:65], v[10:11], -v[32:33]
	s_waitcnt lgkmcnt(0)
	s_barrier
	buffer_gl0_inv
	v_fma_f64 v[14:15], v[60:61], v[14:15], -v[34:35]
	v_add_f64 v[36:37], v[0:1], v[16:17]
	v_add_f64 v[24:25], v[16:17], v[18:19]
	v_add_f64 v[16:17], v[16:17], -v[18:19]
	v_add_f64 v[38:39], v[20:21], -v[22:23]
	v_add_f64 v[40:41], v[4:5], v[8:9]
	v_add_f64 v[32:33], v[8:9], v[12:13]
	;; [unrolled: 1-line block ×5, first 2 shown]
	v_add_f64 v[8:9], v[8:9], -v[12:13]
	v_add_f64 v[34:35], v[10:11], v[14:15]
	v_add_f64 v[10:11], v[10:11], -v[14:15]
	v_fma_f64 v[0:1], v[24:25], -0.5, v[0:1]
	v_add_f64 v[24:25], v[36:37], v[18:19]
	v_add_f64 v[40:41], v[40:41], v[12:13]
	v_fma_f64 v[4:5], v[32:33], -0.5, v[4:5]
	v_fma_f64 v[2:3], v[26:27], -0.5, v[2:3]
	v_add_f64 v[26:27], v[20:21], v[22:23]
	v_add_f64 v[42:43], v[42:43], v[14:15]
	v_fma_f64 v[6:7], v[34:35], -0.5, v[6:7]
	v_fma_f64 v[36:37], v[38:39], s[8:9], v[0:1]
	v_fma_f64 v[32:33], v[38:39], s[10:11], v[0:1]
	scratch_load_b32 v0, off, off offset:128 ; 4-byte Folded Reload
	v_fma_f64 v[44:45], v[10:11], s[8:9], v[4:5]
	v_fma_f64 v[38:39], v[16:17], s[10:11], v[2:3]
	;; [unrolled: 1-line block ×4, first 2 shown]
	s_waitcnt vmcnt(0)
	ds_store_b128 v0, v[24:27]
	ds_store_b128 v0, v[36:39] offset:224
	ds_store_b128 v0, v[32:35] offset:448
	scratch_load_b32 v0, off, off offset:124 ; 4-byte Folded Reload
	v_fma_f64 v[46:47], v[8:9], s[10:11], v[6:7]
	v_fma_f64 v[54:55], v[8:9], s[8:9], v[6:7]
	s_waitcnt vmcnt(0)
	ds_store_b128 v0, v[40:43]
	ds_store_b128 v0, v[44:47] offset:224
	ds_store_b128 v0, v[52:55] offset:448
	s_waitcnt lgkmcnt(0)
	s_barrier
	buffer_gl0_inv
	s_and_saveexec_b32 s1, s0
	s_cbranch_execz .LBB0_15
; %bb.14:
	ds_load_b128 v[24:27], v164
	ds_load_b128 v[36:39], v164 offset:2016
	ds_load_b128 v[32:35], v164 offset:4032
	;; [unrolled: 1-line block ×10, first 2 shown]
.LBB0_15:
	s_or_b32 exec_lo, exec_lo, s1
	s_waitcnt lgkmcnt(0)
	s_barrier
	buffer_gl0_inv
	s_and_saveexec_b32 s16, s0
	s_cbranch_execz .LBB0_17
; %bb.16:
	v_mul_f64 v[2:3], v[50:51], v[38:39]
	v_mul_f64 v[0:1], v[50:51], v[36:37]
	;; [unrolled: 1-line block ×20, first 2 shown]
	s_mov_b32 s18, 0x43842ef
	s_mov_b32 s22, 0xbb3a28a1
	s_mov_b32 s26, 0xfd768dbf
	s_mov_b32 s19, 0xbfefac9e
	s_mov_b32 s23, 0xbfe82f19
	s_mov_b32 s27, 0xbfd207e7
	s_mov_b32 s21, 0x3fed1bb4
	s_mov_b32 s20, 0x8eee2c13
	s_mov_b32 s14, 0x640f44db
	s_mov_b32 s10, 0x7f775887
	s_mov_b32 s24, 0xf8bb580b
	s_mov_b32 s8, 0x9bcd5057
	s_mov_b32 s15, 0xbfc2375f
	s_mov_b32 s11, 0xbfe4f49e
	s_mov_b32 s25, 0x3fe14ced
	s_mov_b32 s9, 0xbfeeb42a
	s_mov_b32 s29, 0xbfe14ced
	s_mov_b32 s31, 0x3fefac9e
	v_fma_f64 v[2:3], v[48:49], v[36:37], v[2:3]
	v_fma_f64 v[0:1], v[48:49], v[38:39], -v[0:1]
	v_fma_f64 v[12:13], v[88:89], v[44:45], v[12:13]
	v_fma_f64 v[44:45], v[92:93], v[132:133], v[14:15]
	v_fma_f64 v[14:15], v[88:89], v[46:47], -v[16:17]
	v_fma_f64 v[46:47], v[92:93], v[134:135], -v[18:19]
	v_fma_f64 v[16:17], v[80:81], v[40:41], v[20:21]
	v_fma_f64 v[18:19], v[68:69], v[32:33], v[50:51]
	v_fma_f64 v[20:21], v[80:81], v[42:43], -v[60:61]
	v_fma_f64 v[6:7], v[100:101], v[28:29], v[6:7]
	v_fma_f64 v[10:11], v[100:101], v[30:31], -v[10:11]
	v_fma_f64 v[36:37], v[84:85], v[128:129], v[22:23]
	v_fma_f64 v[28:29], v[72:73], v[120:121], v[58:59]
	v_fma_f64 v[22:23], v[68:69], v[34:35], -v[64:65]
	v_fma_f64 v[30:31], v[72:73], v[122:123], -v[70:71]
	v_fma_f64 v[4:5], v[96:97], v[52:53], v[4:5]
	v_fma_f64 v[8:9], v[96:97], v[54:55], -v[8:9]
	v_fma_f64 v[38:39], v[84:85], v[130:131], -v[62:63]
	v_fma_f64 v[32:33], v[76:77], v[124:125], v[56:57]
	v_fma_f64 v[34:35], v[76:77], v[126:127], -v[66:67]
	s_mov_b32 s28, s24
	s_mov_b32 s30, s18
	;; [unrolled: 1-line block ×7, first 2 shown]
	v_add_f64 v[42:43], v[24:25], v[2:3]
	v_add_f64 v[40:41], v[26:27], v[0:1]
	v_add_f64 v[50:51], v[12:13], -v[44:45]
	v_add_f64 v[76:77], v[12:13], v[44:45]
	v_add_f64 v[60:61], v[14:15], -v[46:47]
	;; [unrolled: 2-line block ×3, first 2 shown]
	v_add_f64 v[56:57], v[2:3], -v[28:29]
	v_add_f64 v[78:79], v[16:17], v[36:37]
	v_add_f64 v[66:67], v[0:1], -v[30:31]
	v_add_f64 v[48:49], v[4:5], -v[6:7]
	;; [unrolled: 1-line block ×6, first 2 shown]
	v_add_f64 v[72:73], v[20:21], v[38:39]
	v_add_f64 v[0:1], v[0:1], v[30:31]
	v_add_f64 v[2:3], v[2:3], v[28:29]
	v_add_f64 v[74:75], v[4:5], v[6:7]
	v_add_f64 v[68:69], v[8:9], v[10:11]
	v_add_f64 v[42:43], v[42:43], v[18:19]
	v_add_f64 v[40:41], v[40:41], v[22:23]
	v_add_f64 v[22:23], v[22:23], v[34:35]
	v_mul_f64 v[82:83], v[50:51], s[20:21]
	v_add_f64 v[18:19], v[18:19], v[32:33]
	v_mul_f64 v[92:93], v[60:61], s[20:21]
	v_mul_f64 v[102:103], v[50:51], s[26:27]
	v_mul_f64 v[124:125], v[60:61], s[26:27]
	v_mul_f64 v[134:135], v[50:51], s[28:29]
	v_mul_f64 v[144:145], v[60:61], s[28:29]
	v_mul_f64 v[154:155], v[50:51], s[30:31]
	v_mul_f64 v[136:137], v[52:53], s[20:21]
	v_mul_f64 v[88:89], v[56:57], s[26:27]
	v_mul_f64 v[140:141], v[56:57], s[18:19]
	v_mul_f64 v[98:99], v[66:67], s[26:27]
	v_mul_f64 v[130:131], v[66:67], s[22:23]
	v_mul_f64 v[150:151], v[66:67], s[18:19]
	v_mul_f64 v[100:101], v[48:49], s[20:21]
	v_mul_f64 v[122:123], v[58:59], s[20:21]
	v_mul_f64 v[146:147], v[62:63], s[20:21]
	s_mov_b32 s21, 0xbfed1bb4
	v_mul_f64 v[86:87], v[54:55], s[24:25]
	v_mul_f64 v[96:97], v[64:65], s[24:25]
	;; [unrolled: 1-line block ×17, first 2 shown]
	v_add_f64 v[16:17], v[42:43], v[16:17]
	v_add_f64 v[20:21], v[40:41], v[20:21]
	v_mul_f64 v[42:43], v[56:57], s[22:23]
	v_mul_f64 v[40:41], v[54:55], s[30:31]
	;; [unrolled: 1-line block ×10, first 2 shown]
	v_fma_f64 v[177:178], v[0:1], s[8:9], v[88:89]
	v_fma_f64 v[88:89], v[0:1], s[8:9], -v[88:89]
	v_fma_f64 v[187:188], v[2:3], s[8:9], -v[98:99]
	v_fma_f64 v[98:99], v[2:3], s[8:9], v[98:99]
	v_fma_f64 v[191:192], v[2:3], s[10:11], -v[130:131]
	v_fma_f64 v[130:131], v[2:3], s[10:11], v[130:131]
	v_fma_f64 v[193:194], v[0:1], s[14:15], v[140:141]
	v_fma_f64 v[195:196], v[2:3], s[14:15], -v[150:151]
	v_fma_f64 v[140:141], v[0:1], s[14:15], -v[140:141]
	v_fma_f64 v[175:176], v[22:23], s[12:13], v[86:87]
	v_fma_f64 v[185:186], v[18:19], s[12:13], -v[96:97]
	v_fma_f64 v[86:87], v[22:23], s[12:13], -v[86:87]
	v_fma_f64 v[96:97], v[18:19], s[12:13], v[96:97]
	v_fma_f64 v[150:151], v[2:3], s[14:15], v[150:151]
	v_fma_f64 v[203:204], v[18:19], s[8:9], -v[148:149]
	v_fma_f64 v[148:149], v[18:19], s[8:9], v[148:149]
	v_fma_f64 v[197:198], v[0:1], s[12:13], v[169:170]
	;; [unrolled: 3-line block ×3, first 2 shown]
	v_fma_f64 v[207:208], v[18:19], s[10:11], -v[167:168]
	v_fma_f64 v[158:159], v[22:23], s[10:11], -v[158:159]
	v_fma_f64 v[167:168], v[18:19], s[10:11], v[167:168]
	v_fma_f64 v[173:174], v[72:73], s[10:11], v[84:85]
	v_fma_f64 v[183:184], v[78:79], s[10:11], -v[94:95]
	v_fma_f64 v[84:85], v[72:73], s[10:11], -v[84:85]
	v_add_f64 v[12:13], v[16:17], v[12:13]
	v_add_f64 v[14:15], v[20:21], v[14:15]
	v_mul_f64 v[16:17], v[54:55], s[20:21]
	v_mul_f64 v[20:21], v[64:65], s[20:21]
	v_fma_f64 v[189:190], v[0:1], s[10:11], v[42:43]
	v_fma_f64 v[42:43], v[0:1], s[10:11], -v[42:43]
	v_fma_f64 v[199:200], v[0:1], s[0:1], -v[56:57]
	v_fma_f64 v[0:1], v[0:1], s[0:1], v[56:57]
	v_fma_f64 v[56:57], v[2:3], s[0:1], -v[171:172]
	v_fma_f64 v[171:172], v[22:23], s[8:9], v[138:139]
	;; [unrolled: 2-line block ×3, first 2 shown]
	v_fma_f64 v[213:214], v[72:73], s[14:15], v[52:53]
	v_add_f64 v[88:89], v[26:27], v[88:89]
	v_fma_f64 v[215:216], v[78:79], s[14:15], -v[62:63]
	v_add_f64 v[98:99], v[24:25], v[98:99]
	v_fma_f64 v[52:53], v[72:73], s[14:15], -v[52:53]
	v_add_f64 v[130:131], v[24:25], v[130:131]
	v_fma_f64 v[62:63], v[78:79], s[14:15], v[62:63]
	v_mul_f64 v[58:59], v[58:59], s[26:27]
	v_add_f64 v[140:141], v[26:27], v[140:141]
	v_mul_f64 v[60:61], v[60:61], s[22:23]
	v_fma_f64 v[181:182], v[76:77], s[0:1], -v[92:93]
	v_fma_f64 v[64:65], v[70:71], s[0:1], v[82:83]
	v_fma_f64 v[179:180], v[74:75], s[14:15], -v[90:91]
	v_add_f64 v[150:151], v[24:25], v[150:151]
	v_fma_f64 v[82:83], v[70:71], s[0:1], -v[82:83]
	v_fma_f64 v[90:91], v[74:75], s[14:15], v[90:91]
	v_fma_f64 v[92:93], v[76:77], s[0:1], v[92:93]
	v_add_f64 v[169:170], v[26:27], v[169:170]
	v_mul_f64 v[80:81], v[48:49], s[18:19]
	v_mul_f64 v[152:153], v[48:49], s[24:25]
	;; [unrolled: 1-line block ×3, first 2 shown]
	v_add_f64 v[4:5], v[12:13], v[4:5]
	v_add_f64 v[8:9], v[14:15], v[8:9]
	v_fma_f64 v[12:13], v[2:3], s[12:13], v[66:67]
	v_fma_f64 v[2:3], v[2:3], s[12:13], -v[66:67]
	v_fma_f64 v[14:15], v[22:23], s[14:15], v[40:41]
	v_fma_f64 v[66:67], v[18:19], s[14:15], -v[128:129]
	v_fma_f64 v[40:41], v[22:23], s[14:15], -v[40:41]
	v_fma_f64 v[128:129], v[18:19], s[14:15], v[128:129]
	v_fma_f64 v[209:210], v[22:23], s[0:1], v[16:17]
	v_fma_f64 v[211:212], v[18:19], s[0:1], -v[20:21]
	v_fma_f64 v[16:17], v[22:23], s[0:1], -v[16:17]
	v_fma_f64 v[18:19], v[18:19], s[0:1], v[20:21]
	v_add_f64 v[20:21], v[26:27], v[177:178]
	v_add_f64 v[22:23], v[24:25], v[187:188]
	;; [unrolled: 1-line block ×12, first 2 shown]
	v_fma_f64 v[56:57], v[78:79], s[12:13], v[126:127]
	v_fma_f64 v[199:200], v[72:73], s[8:9], v[156:157]
	v_fma_f64 v[201:202], v[78:79], s[8:9], -v[165:166]
	v_fma_f64 v[156:157], v[72:73], s[8:9], -v[156:157]
	v_fma_f64 v[165:166], v[78:79], s[8:9], v[165:166]
	v_fma_f64 v[54:55], v[68:69], s[14:15], v[80:81]
	v_fma_f64 v[80:81], v[68:69], s[14:15], -v[80:81]
	v_add_f64 v[4:5], v[4:5], v[6:7]
	v_add_f64 v[8:9], v[8:9], v[10:11]
	;; [unrolled: 1-line block ×4, first 2 shown]
	v_fma_f64 v[10:11], v[72:73], s[12:13], v[120:121]
	v_fma_f64 v[12:13], v[78:79], s[12:13], -v[126:127]
	v_fma_f64 v[24:25], v[72:73], s[12:13], -v[120:121]
	v_fma_f64 v[120:121], v[72:73], s[0:1], v[136:137]
	v_fma_f64 v[126:127], v[78:79], s[0:1], -v[146:147]
	v_fma_f64 v[136:137], v[72:73], s[0:1], -v[136:137]
	v_fma_f64 v[146:147], v[78:79], s[0:1], v[146:147]
	v_add_f64 v[72:73], v[86:87], v[88:89]
	v_add_f64 v[78:79], v[96:97], v[98:99]
	v_add_f64 v[22:23], v[185:186], v[22:23]
	v_add_f64 v[14:15], v[14:15], v[177:178]
	v_add_f64 v[96:97], v[138:139], v[140:141]
	v_add_f64 v[40:41], v[40:41], v[42:43]
	v_add_f64 v[42:43], v[128:129], v[130:131]
	v_add_f64 v[86:87], v[171:172], v[189:190]
	v_add_f64 v[88:89], v[203:204], v[191:192]
	v_add_f64 v[66:67], v[66:67], v[187:188]
	v_add_f64 v[98:99], v[148:149], v[150:151]
	v_add_f64 v[128:129], v[209:210], v[193:194]
	v_add_f64 v[0:1], v[205:206], v[0:1]
	v_fma_f64 v[140:141], v[76:77], s[12:13], -v[144:145]
	v_add_f64 v[130:131], v[158:159], v[195:196]
	v_add_f64 v[138:139], v[167:168], v[197:198]
	v_fma_f64 v[144:145], v[76:77], s[12:13], v[144:145]
	v_fma_f64 v[148:149], v[70:71], s[14:15], v[154:155]
	v_fma_f64 v[150:151], v[76:77], s[14:15], -v[162:163]
	v_fma_f64 v[154:155], v[70:71], s[14:15], -v[154:155]
	v_fma_f64 v[158:159], v[76:77], s[14:15], v[162:163]
	v_fma_f64 v[162:163], v[70:71], s[10:11], v[50:51]
	v_fma_f64 v[167:168], v[76:77], s[10:11], -v[60:61]
	v_fma_f64 v[50:51], v[70:71], s[10:11], -v[50:51]
	v_fma_f64 v[60:61], v[76:77], s[10:11], v[60:61]
	v_add_f64 v[20:21], v[175:176], v[20:21]
	v_add_f64 v[16:17], v[16:17], v[169:170]
	;; [unrolled: 1-line block ×5, first 2 shown]
	v_fma_f64 v[18:19], v[70:71], s[8:9], v[102:103]
	v_fma_f64 v[44:45], v[76:77], s[8:9], -v[124:125]
	v_fma_f64 v[46:47], v[70:71], s[8:9], -v[102:103]
	v_fma_f64 v[102:103], v[76:77], s[8:9], v[124:125]
	v_fma_f64 v[124:125], v[70:71], s[12:13], v[134:135]
	v_fma_f64 v[134:135], v[70:71], s[12:13], -v[134:135]
	v_add_f64 v[26:27], v[207:208], v[26:27]
	v_add_f64 v[2:3], v[211:212], v[2:3]
	v_add_f64 v[70:71], v[84:85], v[72:73]
	v_add_f64 v[72:73], v[94:95], v[78:79]
	v_add_f64 v[22:23], v[183:184], v[22:23]
	v_add_f64 v[10:11], v[10:11], v[14:15]
	v_fma_f64 v[84:85], v[74:75], s[0:1], v[122:123]
	v_add_f64 v[14:15], v[24:25], v[40:41]
	v_add_f64 v[24:25], v[56:57], v[42:43]
	;; [unrolled: 1-line block ×9, first 2 shown]
	v_fma_f64 v[88:89], v[74:75], s[10:11], -v[142:143]
	v_fma_f64 v[94:95], v[68:69], s[10:11], -v[132:133]
	v_fma_f64 v[96:97], v[74:75], s[10:11], v[142:143]
	v_fma_f64 v[128:129], v[74:75], s[8:9], -v[58:59]
	v_fma_f64 v[58:59], v[74:75], s[8:9], v[58:59]
	v_add_f64 v[78:79], v[165:166], v[138:139]
	v_fma_f64 v[86:87], v[68:69], s[10:11], v[132:133]
	v_fma_f64 v[98:99], v[68:69], s[12:13], v[152:153]
	v_fma_f64 v[120:121], v[68:69], s[12:13], -v[152:153]
	v_fma_f64 v[126:127], v[68:69], s[8:9], v[48:49]
	v_fma_f64 v[48:49], v[68:69], s[8:9], -v[48:49]
	v_add_f64 v[20:21], v[173:174], v[20:21]
	v_add_f64 v[16:17], v[52:53], v[16:17]
	;; [unrolled: 1-line block ×5, first 2 shown]
	v_fma_f64 v[36:37], v[68:69], s[0:1], v[100:101]
	v_fma_f64 v[38:39], v[74:75], s[0:1], -v[122:123]
	v_fma_f64 v[62:63], v[68:69], s[0:1], -v[100:101]
	;; [unrolled: 1-line block ×3, first 2 shown]
	v_fma_f64 v[122:123], v[74:75], s[12:13], v[160:161]
	v_add_f64 v[52:53], v[156:157], v[130:131]
	v_add_f64 v[26:27], v[201:202], v[26:27]
	;; [unrolled: 1-line block ×40, first 2 shown]
	s_clause 0x1
	scratch_load_b32 v28, off, off offset:120
	scratch_load_b32 v29, off, off offset:108
	v_add_f64 v[20:21], v[96:97], v[44:45]
	v_add_f64 v[44:45], v[72:73], v[30:31]
	v_add_f64 v[32:33], v[48:49], v[50:51]
	v_add_f64 v[30:31], v[58:59], v[60:61]
	v_add_f64 v[36:37], v[120:121], v[52:53]
	v_add_f64 v[38:39], v[100:101], v[70:71]
	v_add_f64 v[24:25], v[128:129], v[76:77]
	s_waitcnt vmcnt(1)
	v_mul_u32_u24_e32 v28, 0x1ce, v28
	s_waitcnt vmcnt(0)
	s_delay_alu instid0(VALU_DEP_1)
	v_add_lshl_u32 v28, v28, v29, 4
	ds_store_b128 v28, v[12:15] offset:2688
	ds_store_b128 v28, v[4:7] offset:3360
	;; [unrolled: 1-line block ×8, first 2 shown]
	ds_store_b128 v28, v[42:45]
	ds_store_b128 v28, v[30:33] offset:672
	ds_store_b128 v28, v[24:27] offset:6720
.LBB0_17:
	s_or_b32 exec_lo, exec_lo, s16
	s_waitcnt lgkmcnt(0)
	s_barrier
	buffer_gl0_inv
	ds_load_b128 v[0:3], v164 offset:7392
	ds_load_b128 v[4:7], v164 offset:14784
	;; [unrolled: 1-line block ×4, first 2 shown]
	s_mov_b32 s0, 0xe8584caa
	s_mov_b32 s1, 0xbfebb67a
	;; [unrolled: 1-line block ×4, first 2 shown]
	v_mad_u64_u32 v[50:51], null, s4, v217, 0
	s_waitcnt lgkmcnt(3)
	v_mul_f64 v[16:17], v[118:119], v[2:3]
	v_mul_f64 v[18:19], v[118:119], v[0:1]
	s_waitcnt lgkmcnt(2)
	v_mul_f64 v[20:21], v[114:115], v[6:7]
	v_mul_f64 v[22:23], v[114:115], v[4:5]
	;; [unrolled: 3-line block ×4, first 2 shown]
	v_fma_f64 v[16:17], v[116:117], v[0:1], v[16:17]
	v_fma_f64 v[18:19], v[116:117], v[2:3], -v[18:19]
	v_fma_f64 v[20:21], v[112:113], v[4:5], v[20:21]
	v_fma_f64 v[22:23], v[112:113], v[6:7], -v[22:23]
	;; [unrolled: 2-line block ×4, first 2 shown]
	ds_load_b128 v[0:3], v164
	ds_load_b128 v[4:7], v164 offset:3696
	s_waitcnt lgkmcnt(1)
	v_add_f64 v[32:33], v[0:1], v[16:17]
	v_add_f64 v[24:25], v[16:17], v[20:21]
	;; [unrolled: 1-line block ×3, first 2 shown]
	v_add_f64 v[34:35], v[18:19], -v[22:23]
	v_add_f64 v[18:19], v[2:3], v[18:19]
	v_add_f64 v[28:29], v[8:9], v[12:13]
	;; [unrolled: 1-line block ×3, first 2 shown]
	s_waitcnt lgkmcnt(0)
	v_add_f64 v[36:37], v[4:5], v[8:9]
	v_add_f64 v[38:39], v[6:7], v[10:11]
	v_add_f64 v[16:17], v[16:17], -v[20:21]
	v_add_f64 v[40:41], v[10:11], -v[14:15]
	;; [unrolled: 1-line block ×3, first 2 shown]
	v_fma_f64 v[24:25], v[24:25], -0.5, v[0:1]
	v_fma_f64 v[26:27], v[26:27], -0.5, v[2:3]
	v_add_f64 v[0:1], v[32:33], v[20:21]
	v_add_f64 v[2:3], v[18:19], v[22:23]
	v_fma_f64 v[28:29], v[28:29], -0.5, v[4:5]
	v_fma_f64 v[30:31], v[30:31], -0.5, v[6:7]
	v_add_f64 v[4:5], v[36:37], v[12:13]
	v_add_f64 v[6:7], v[38:39], v[14:15]
	v_fma_f64 v[8:9], v[34:35], s[0:1], v[24:25]
	v_fma_f64 v[10:11], v[16:17], s[8:9], v[26:27]
	;; [unrolled: 1-line block ×8, first 2 shown]
	s_mov_b32 s0, 0x5e918c
	s_mov_b32 s1, 0x3f47a463
	ds_store_b128 v164, v[0:3]
	ds_store_b128 v164, v[4:7] offset:3696
	ds_store_b128 v164, v[8:11] offset:7392
	ds_store_b128 v164, v[16:19] offset:11088
	ds_store_b128 v164, v[12:15] offset:14784
	ds_store_b128 v164, v[20:23] offset:18480
	s_waitcnt lgkmcnt(0)
	s_barrier
	buffer_gl0_inv
	ds_load_b128 v[0:3], v164
	ds_load_b128 v[4:7], v164 offset:11088
	ds_load_b128 v[8:11], v164 offset:3696
	;; [unrolled: 1-line block ×5, first 2 shown]
	s_clause 0x3
	scratch_load_b128 v[55:58], off, off offset:12
	scratch_load_b64 v[48:49], off, off
	scratch_load_b128 v[61:64], off, off offset:44
	scratch_load_b128 v[67:70], off, off offset:76
	s_waitcnt vmcnt(3) lgkmcnt(5)
	v_mul_f64 v[24:25], v[57:58], v[2:3]
	v_mul_f64 v[26:27], v[57:58], v[0:1]
	scratch_load_b128 v[57:60], off, off offset:28 ; 16-byte Folded Reload
	s_waitcnt vmcnt(2) lgkmcnt(4)
	v_mul_f64 v[28:29], v[63:64], v[6:7]
	v_mul_f64 v[30:31], v[63:64], v[4:5]
	scratch_load_b128 v[63:66], off, off offset:60 ; 16-byte Folded Reload
	;; [unrolled: 4-line block ×3, first 2 shown]
	v_mov_b32_e32 v54, v48
	s_delay_alu instid0(VALU_DEP_1) | instskip(SKIP_1) | instid1(VALU_DEP_1)
	v_mad_u64_u32 v[48:49], null, s6, v54, 0
	s_mul_i32 s6, s5, 0x2b50
	v_mad_u64_u32 v[52:53], null, s7, v54, v[49:50]
	s_mul_hi_u32 s7, s4, 0x2b50
	s_delay_alu instid0(SALU_CYCLE_1) | instskip(NEXT) | instid1(VALU_DEP_1)
	s_add_i32 s7, s7, s6
	v_mad_u64_u32 v[53:54], null, s5, v217, v[51:52]
	v_mov_b32_e32 v49, v52
	s_delay_alu instid0(VALU_DEP_2)
	v_mov_b32_e32 v51, v53
	v_fma_f64 v[0:1], v[55:56], v[0:1], v[24:25]
	v_fma_f64 v[2:3], v[55:56], v[2:3], -v[26:27]
	v_fma_f64 v[4:5], v[61:62], v[4:5], v[28:29]
	v_fma_f64 v[6:7], v[61:62], v[6:7], -v[30:31]
	v_lshlrev_b64 v[24:25], 4, v[48:49]
	v_fma_f64 v[12:13], v[67:68], v[12:13], v[36:37]
	v_fma_f64 v[14:15], v[67:68], v[14:15], -v[38:39]
	v_lshlrev_b64 v[26:27], 4, v[50:51]
	s_delay_alu instid0(VALU_DEP_4) | instskip(SKIP_2) | instid1(VALU_DEP_2)
	v_add_co_u32 v24, vcc_lo, s2, v24
	v_add_co_ci_u32_e32 v25, vcc_lo, s3, v25, vcc_lo
	s_mul_i32 s2, s4, 0x2b50
	v_add_co_u32 v24, vcc_lo, v24, v26
	s_delay_alu instid0(VALU_DEP_2) | instskip(NEXT) | instid1(VALU_DEP_2)
	v_add_co_ci_u32_e32 v25, vcc_lo, v25, v27, vcc_lo
	v_add_co_u32 v26, vcc_lo, v24, s2
	s_delay_alu instid0(VALU_DEP_2) | instskip(NEXT) | instid1(VALU_DEP_1)
	v_add_co_ci_u32_e32 v27, vcc_lo, s7, v25, vcc_lo
	v_mad_u64_u32 v[28:29], null, 0xffffe320, s4, v[26:27]
	s_delay_alu instid0(VALU_DEP_1)
	v_add_co_u32 v30, vcc_lo, v28, s2
	v_mul_f64 v[0:1], v[0:1], s[0:1]
	v_mul_f64 v[2:3], v[2:3], s[0:1]
	;; [unrolled: 1-line block ×6, first 2 shown]
	s_waitcnt vmcnt(2)
	v_mul_f64 v[32:33], v[59:60], v[10:11]
	v_mul_f64 v[34:35], v[59:60], v[8:9]
	s_waitcnt vmcnt(1) lgkmcnt(1)
	v_mul_f64 v[40:41], v[65:66], v[18:19]
	v_mul_f64 v[42:43], v[65:66], v[16:17]
	s_waitcnt vmcnt(0) lgkmcnt(0)
	v_mul_f64 v[44:45], v[71:72], v[22:23]
	v_mul_f64 v[46:47], v[71:72], v[20:21]
	v_fma_f64 v[8:9], v[57:58], v[8:9], v[32:33]
	v_fma_f64 v[10:11], v[57:58], v[10:11], -v[34:35]
	v_fma_f64 v[16:17], v[63:64], v[16:17], v[40:41]
	v_fma_f64 v[18:19], v[63:64], v[18:19], -v[42:43]
	;; [unrolled: 2-line block ×3, first 2 shown]
	v_mul_f64 v[8:9], v[8:9], s[0:1]
	v_mul_f64 v[10:11], v[10:11], s[0:1]
	;; [unrolled: 1-line block ×6, first 2 shown]
	s_mul_i32 s0, s5, 0xffffe320
	s_delay_alu instid0(SALU_CYCLE_1) | instskip(NEXT) | instid1(SALU_CYCLE_1)
	s_sub_i32 s0, s0, s4
	v_add_nc_u32_e32 v29, s0, v29
	s_delay_alu instid0(VALU_DEP_1) | instskip(NEXT) | instid1(VALU_DEP_1)
	v_add_co_ci_u32_e32 v31, vcc_lo, s7, v29, vcc_lo
	v_mad_u64_u32 v[32:33], null, 0xffffe320, s4, v[30:31]
	s_delay_alu instid0(VALU_DEP_1) | instskip(NEXT) | instid1(VALU_DEP_2)
	v_add_nc_u32_e32 v33, s0, v33
	v_add_co_u32 v34, vcc_lo, v32, s2
	s_delay_alu instid0(VALU_DEP_2)
	v_add_co_ci_u32_e32 v35, vcc_lo, s7, v33, vcc_lo
	s_clause 0x4
	global_store_b128 v[24:25], v[0:3], off
	global_store_b128 v[26:27], v[4:7], off
	;; [unrolled: 1-line block ×6, first 2 shown]
.LBB0_18:
	s_nop 0
	s_sendmsg sendmsg(MSG_DEALLOC_VGPRS)
	s_endpgm
	.section	.rodata,"a",@progbits
	.p2align	6, 0x0
	.amdhsa_kernel bluestein_single_fwd_len1386_dim1_dp_op_CI_CI
		.amdhsa_group_segment_fixed_size 22176
		.amdhsa_private_segment_fixed_size 208
		.amdhsa_kernarg_size 104
		.amdhsa_user_sgpr_count 15
		.amdhsa_user_sgpr_dispatch_ptr 0
		.amdhsa_user_sgpr_queue_ptr 0
		.amdhsa_user_sgpr_kernarg_segment_ptr 1
		.amdhsa_user_sgpr_dispatch_id 0
		.amdhsa_user_sgpr_private_segment_size 0
		.amdhsa_wavefront_size32 1
		.amdhsa_uses_dynamic_stack 0
		.amdhsa_enable_private_segment 1
		.amdhsa_system_sgpr_workgroup_id_x 1
		.amdhsa_system_sgpr_workgroup_id_y 0
		.amdhsa_system_sgpr_workgroup_id_z 0
		.amdhsa_system_sgpr_workgroup_info 0
		.amdhsa_system_vgpr_workitem_id 0
		.amdhsa_next_free_vgpr 256
		.amdhsa_next_free_sgpr 40
		.amdhsa_reserve_vcc 1
		.amdhsa_float_round_mode_32 0
		.amdhsa_float_round_mode_16_64 0
		.amdhsa_float_denorm_mode_32 3
		.amdhsa_float_denorm_mode_16_64 3
		.amdhsa_dx10_clamp 1
		.amdhsa_ieee_mode 1
		.amdhsa_fp16_overflow 0
		.amdhsa_workgroup_processor_mode 1
		.amdhsa_memory_ordered 1
		.amdhsa_forward_progress 0
		.amdhsa_shared_vgpr_count 0
		.amdhsa_exception_fp_ieee_invalid_op 0
		.amdhsa_exception_fp_denorm_src 0
		.amdhsa_exception_fp_ieee_div_zero 0
		.amdhsa_exception_fp_ieee_overflow 0
		.amdhsa_exception_fp_ieee_underflow 0
		.amdhsa_exception_fp_ieee_inexact 0
		.amdhsa_exception_int_div_zero 0
	.end_amdhsa_kernel
	.text
.Lfunc_end0:
	.size	bluestein_single_fwd_len1386_dim1_dp_op_CI_CI, .Lfunc_end0-bluestein_single_fwd_len1386_dim1_dp_op_CI_CI
                                        ; -- End function
	.section	.AMDGPU.csdata,"",@progbits
; Kernel info:
; codeLenInByte = 15176
; NumSgprs: 42
; NumVgprs: 256
; ScratchSize: 208
; MemoryBound: 0
; FloatMode: 240
; IeeeMode: 1
; LDSByteSize: 22176 bytes/workgroup (compile time only)
; SGPRBlocks: 5
; VGPRBlocks: 31
; NumSGPRsForWavesPerEU: 42
; NumVGPRsForWavesPerEU: 256
; Occupancy: 5
; WaveLimiterHint : 1
; COMPUTE_PGM_RSRC2:SCRATCH_EN: 1
; COMPUTE_PGM_RSRC2:USER_SGPR: 15
; COMPUTE_PGM_RSRC2:TRAP_HANDLER: 0
; COMPUTE_PGM_RSRC2:TGID_X_EN: 1
; COMPUTE_PGM_RSRC2:TGID_Y_EN: 0
; COMPUTE_PGM_RSRC2:TGID_Z_EN: 0
; COMPUTE_PGM_RSRC2:TIDIG_COMP_CNT: 0
	.text
	.p2alignl 7, 3214868480
	.fill 96, 4, 3214868480
	.type	__hip_cuid_855637cbdd610ade,@object ; @__hip_cuid_855637cbdd610ade
	.section	.bss,"aw",@nobits
	.globl	__hip_cuid_855637cbdd610ade
__hip_cuid_855637cbdd610ade:
	.byte	0                               ; 0x0
	.size	__hip_cuid_855637cbdd610ade, 1

	.ident	"AMD clang version 19.0.0git (https://github.com/RadeonOpenCompute/llvm-project roc-6.4.0 25133 c7fe45cf4b819c5991fe208aaa96edf142730f1d)"
	.section	".note.GNU-stack","",@progbits
	.addrsig
	.addrsig_sym __hip_cuid_855637cbdd610ade
	.amdgpu_metadata
---
amdhsa.kernels:
  - .args:
      - .actual_access:  read_only
        .address_space:  global
        .offset:         0
        .size:           8
        .value_kind:     global_buffer
      - .actual_access:  read_only
        .address_space:  global
        .offset:         8
        .size:           8
        .value_kind:     global_buffer
      - .actual_access:  read_only
        .address_space:  global
        .offset:         16
        .size:           8
        .value_kind:     global_buffer
      - .actual_access:  read_only
        .address_space:  global
        .offset:         24
        .size:           8
        .value_kind:     global_buffer
      - .actual_access:  read_only
        .address_space:  global
        .offset:         32
        .size:           8
        .value_kind:     global_buffer
      - .offset:         40
        .size:           8
        .value_kind:     by_value
      - .address_space:  global
        .offset:         48
        .size:           8
        .value_kind:     global_buffer
      - .address_space:  global
        .offset:         56
        .size:           8
        .value_kind:     global_buffer
      - .address_space:  global
        .offset:         64
        .size:           8
        .value_kind:     global_buffer
      - .address_space:  global
        .offset:         72
        .size:           8
        .value_kind:     global_buffer
      - .offset:         80
        .size:           4
        .value_kind:     by_value
      - .address_space:  global
        .offset:         88
        .size:           8
        .value_kind:     global_buffer
      - .address_space:  global
        .offset:         96
        .size:           8
        .value_kind:     global_buffer
    .group_segment_fixed_size: 22176
    .kernarg_segment_align: 8
    .kernarg_segment_size: 104
    .language:       OpenCL C
    .language_version:
      - 2
      - 0
    .max_flat_workgroup_size: 231
    .name:           bluestein_single_fwd_len1386_dim1_dp_op_CI_CI
    .private_segment_fixed_size: 208
    .sgpr_count:     42
    .sgpr_spill_count: 0
    .symbol:         bluestein_single_fwd_len1386_dim1_dp_op_CI_CI.kd
    .uniform_work_group_size: 1
    .uses_dynamic_stack: false
    .vgpr_count:     256
    .vgpr_spill_count: 51
    .wavefront_size: 32
    .workgroup_processor_mode: 1
amdhsa.target:   amdgcn-amd-amdhsa--gfx1100
amdhsa.version:
  - 1
  - 2
...

	.end_amdgpu_metadata
